;; amdgpu-corpus repo=ROCm/rocSPARSE kind=compiled arch=gfx1250 opt=O3
	.amdgcn_target "amdgcn-amd-amdhsa--gfx1250"
	.amdhsa_code_object_version 6
	.section	.text._ZN9rocsparseL36csrmmnn_nnz_split_compute_row_limitsILj256ELj256EiiEEvT2_T1_S2_PKS2_PS1_21rocsparse_index_base_,"axG",@progbits,_ZN9rocsparseL36csrmmnn_nnz_split_compute_row_limitsILj256ELj256EiiEEvT2_T1_S2_PKS2_PS1_21rocsparse_index_base_,comdat
	.globl	_ZN9rocsparseL36csrmmnn_nnz_split_compute_row_limitsILj256ELj256EiiEEvT2_T1_S2_PKS2_PS1_21rocsparse_index_base_ ; -- Begin function _ZN9rocsparseL36csrmmnn_nnz_split_compute_row_limitsILj256ELj256EiiEEvT2_T1_S2_PKS2_PS1_21rocsparse_index_base_
	.p2align	8
	.type	_ZN9rocsparseL36csrmmnn_nnz_split_compute_row_limitsILj256ELj256EiiEEvT2_T1_S2_PKS2_PS1_21rocsparse_index_base_,@function
_ZN9rocsparseL36csrmmnn_nnz_split_compute_row_limitsILj256ELj256EiiEEvT2_T1_S2_PKS2_PS1_21rocsparse_index_base_: ; @_ZN9rocsparseL36csrmmnn_nnz_split_compute_row_limitsILj256ELj256EiiEEvT2_T1_S2_PKS2_PS1_21rocsparse_index_base_
; %bb.0:
	s_load_b64 s[2:3], s[0:1], 0x0
	s_bfe_u32 s4, ttmp6, 0x4000c
	s_and_b32 s5, ttmp6, 15
	s_add_co_i32 s4, s4, 1
	s_getreg_b32 s6, hwreg(HW_REG_IB_STS2, 6, 4)
	s_mul_i32 s4, ttmp9, s4
	s_delay_alu instid0(SALU_CYCLE_1) | instskip(SKIP_2) | instid1(SALU_CYCLE_1)
	s_add_co_i32 s5, s5, s4
	s_cmp_eq_u32 s6, 0
	s_cselect_b32 s4, ttmp9, s5
	v_lshl_or_b32 v0, s4, 8, v0
	s_mov_b32 s4, exec_lo
	s_wait_kmcnt 0x0
	s_delay_alu instid0(VALU_DEP_1)
	v_cmpx_gt_i32_e64 s3, v0
	s_cbranch_execz .LBB0_7
; %bb.1:
	s_clause 0x1
	s_load_b128 s[4:7], s[0:1], 0x10
	s_load_b32 s8, s[0:1], 0x20
	v_dual_mov_b32 v2, 0 :: v_dual_lshlrev_b32 v1, 8, v0
	s_wait_kmcnt 0x0
	s_load_b32 s0, s[4:5], 0x0
	s_wait_kmcnt 0x0
	s_sub_co_i32 s0, s0, s8
	s_cmp_gt_i32 s2, 1
	v_cmp_lt_i32_e32 vcc_lo, s0, v1
	s_cselect_b32 s0, -1, 0
	s_delay_alu instid0(SALU_CYCLE_1) | instskip(NEXT) | instid1(SALU_CYCLE_1)
	s_and_b32 s0, vcc_lo, s0
	s_and_saveexec_b32 s9, s0
	s_cbranch_execz .LBB0_5
; %bb.2:
	s_lshr_b32 s0, s2, 1
	s_delay_alu instid0(SALU_CYCLE_1)
	v_dual_mov_b32 v3, s2 :: v_dual_mov_b32 v4, s0
	v_mov_b32_e32 v2, 0
	s_mov_b32 s10, 0
.LBB0_3:                                ; =>This Inner Loop Header: Depth=1
	global_load_b32 v5, v4, s[4:5] scale_offset
	s_wait_loadcnt 0x0
	v_subrev_nc_u32_e32 v5, s8, v5
	s_delay_alu instid0(VALU_DEP_1) | instskip(SKIP_3) | instid1(VALU_DEP_1)
	v_cmp_gt_i32_e32 vcc_lo, v5, v1
	v_dual_cndmask_b32 v2, v4, v2 :: v_dual_cndmask_b32 v3, v3, v4
	global_load_b32 v5, v2, s[4:5] scale_offset
	v_add_nc_u32_e32 v4, v2, v3
	v_lshrrev_b32_e32 v4, 1, v4
	s_delay_alu instid0(VALU_DEP_1) | instskip(SKIP_3) | instid1(VALU_DEP_1)
	v_cmp_ge_i32_e32 vcc_lo, v2, v4
	v_cmp_le_i32_e64 s1, v3, v4
	s_wait_loadcnt 0x0
	v_subrev_nc_u32_e32 v5, s8, v5
	v_cmp_ge_i32_e64 s0, v5, v1
	s_or_b32 s0, s0, vcc_lo
	s_delay_alu instid0(SALU_CYCLE_1) | instskip(NEXT) | instid1(SALU_CYCLE_1)
	s_or_b32 s0, s0, s1
	s_and_b32 s0, exec_lo, s0
	s_delay_alu instid0(SALU_CYCLE_1) | instskip(NEXT) | instid1(SALU_CYCLE_1)
	s_or_b32 s10, s0, s10
	s_and_not1_b32 exec_lo, exec_lo, s10
	s_cbranch_execnz .LBB0_3
; %bb.4:
	s_or_b32 exec_lo, exec_lo, s10
.LBB0_5:
	s_delay_alu instid0(SALU_CYCLE_1)
	s_or_b32 exec_lo, exec_lo, s9
	s_add_co_i32 s0, s3, -1
	global_store_b32 v0, v2, s[6:7] scale_offset
	v_cmp_eq_u32_e32 vcc_lo, s0, v0
	s_wait_xcnt 0x0
	s_and_b32 exec_lo, exec_lo, vcc_lo
	s_cbranch_execz .LBB0_7
; %bb.6:
	v_dual_mov_b32 v2, s2 :: v_dual_ashrrev_i32 v1, 31, v0
	s_delay_alu instid0(VALU_DEP_1)
	v_lshl_add_u64 v[0:1], v[0:1], 2, s[6:7]
	global_store_b32 v[0:1], v2, off offset:4
.LBB0_7:
	s_endpgm
	.section	.rodata,"a",@progbits
	.p2align	6, 0x0
	.amdhsa_kernel _ZN9rocsparseL36csrmmnn_nnz_split_compute_row_limitsILj256ELj256EiiEEvT2_T1_S2_PKS2_PS1_21rocsparse_index_base_
		.amdhsa_group_segment_fixed_size 0
		.amdhsa_private_segment_fixed_size 0
		.amdhsa_kernarg_size 36
		.amdhsa_user_sgpr_count 2
		.amdhsa_user_sgpr_dispatch_ptr 0
		.amdhsa_user_sgpr_queue_ptr 0
		.amdhsa_user_sgpr_kernarg_segment_ptr 1
		.amdhsa_user_sgpr_dispatch_id 0
		.amdhsa_user_sgpr_kernarg_preload_length 0
		.amdhsa_user_sgpr_kernarg_preload_offset 0
		.amdhsa_user_sgpr_private_segment_size 0
		.amdhsa_wavefront_size32 1
		.amdhsa_uses_dynamic_stack 0
		.amdhsa_enable_private_segment 0
		.amdhsa_system_sgpr_workgroup_id_x 1
		.amdhsa_system_sgpr_workgroup_id_y 0
		.amdhsa_system_sgpr_workgroup_id_z 0
		.amdhsa_system_sgpr_workgroup_info 0
		.amdhsa_system_vgpr_workitem_id 0
		.amdhsa_next_free_vgpr 6
		.amdhsa_next_free_sgpr 11
		.amdhsa_named_barrier_count 0
		.amdhsa_reserve_vcc 1
		.amdhsa_float_round_mode_32 0
		.amdhsa_float_round_mode_16_64 0
		.amdhsa_float_denorm_mode_32 3
		.amdhsa_float_denorm_mode_16_64 3
		.amdhsa_fp16_overflow 0
		.amdhsa_memory_ordered 1
		.amdhsa_forward_progress 1
		.amdhsa_inst_pref_size 3
		.amdhsa_round_robin_scheduling 0
		.amdhsa_exception_fp_ieee_invalid_op 0
		.amdhsa_exception_fp_denorm_src 0
		.amdhsa_exception_fp_ieee_div_zero 0
		.amdhsa_exception_fp_ieee_overflow 0
		.amdhsa_exception_fp_ieee_underflow 0
		.amdhsa_exception_fp_ieee_inexact 0
		.amdhsa_exception_int_div_zero 0
	.end_amdhsa_kernel
	.section	.text._ZN9rocsparseL36csrmmnn_nnz_split_compute_row_limitsILj256ELj256EiiEEvT2_T1_S2_PKS2_PS1_21rocsparse_index_base_,"axG",@progbits,_ZN9rocsparseL36csrmmnn_nnz_split_compute_row_limitsILj256ELj256EiiEEvT2_T1_S2_PKS2_PS1_21rocsparse_index_base_,comdat
.Lfunc_end0:
	.size	_ZN9rocsparseL36csrmmnn_nnz_split_compute_row_limitsILj256ELj256EiiEEvT2_T1_S2_PKS2_PS1_21rocsparse_index_base_, .Lfunc_end0-_ZN9rocsparseL36csrmmnn_nnz_split_compute_row_limitsILj256ELj256EiiEEvT2_T1_S2_PKS2_PS1_21rocsparse_index_base_
                                        ; -- End function
	.set _ZN9rocsparseL36csrmmnn_nnz_split_compute_row_limitsILj256ELj256EiiEEvT2_T1_S2_PKS2_PS1_21rocsparse_index_base_.num_vgpr, 6
	.set _ZN9rocsparseL36csrmmnn_nnz_split_compute_row_limitsILj256ELj256EiiEEvT2_T1_S2_PKS2_PS1_21rocsparse_index_base_.num_agpr, 0
	.set _ZN9rocsparseL36csrmmnn_nnz_split_compute_row_limitsILj256ELj256EiiEEvT2_T1_S2_PKS2_PS1_21rocsparse_index_base_.numbered_sgpr, 11
	.set _ZN9rocsparseL36csrmmnn_nnz_split_compute_row_limitsILj256ELj256EiiEEvT2_T1_S2_PKS2_PS1_21rocsparse_index_base_.num_named_barrier, 0
	.set _ZN9rocsparseL36csrmmnn_nnz_split_compute_row_limitsILj256ELj256EiiEEvT2_T1_S2_PKS2_PS1_21rocsparse_index_base_.private_seg_size, 0
	.set _ZN9rocsparseL36csrmmnn_nnz_split_compute_row_limitsILj256ELj256EiiEEvT2_T1_S2_PKS2_PS1_21rocsparse_index_base_.uses_vcc, 1
	.set _ZN9rocsparseL36csrmmnn_nnz_split_compute_row_limitsILj256ELj256EiiEEvT2_T1_S2_PKS2_PS1_21rocsparse_index_base_.uses_flat_scratch, 0
	.set _ZN9rocsparseL36csrmmnn_nnz_split_compute_row_limitsILj256ELj256EiiEEvT2_T1_S2_PKS2_PS1_21rocsparse_index_base_.has_dyn_sized_stack, 0
	.set _ZN9rocsparseL36csrmmnn_nnz_split_compute_row_limitsILj256ELj256EiiEEvT2_T1_S2_PKS2_PS1_21rocsparse_index_base_.has_recursion, 0
	.set _ZN9rocsparseL36csrmmnn_nnz_split_compute_row_limitsILj256ELj256EiiEEvT2_T1_S2_PKS2_PS1_21rocsparse_index_base_.has_indirect_call, 0
	.section	.AMDGPU.csdata,"",@progbits
; Kernel info:
; codeLenInByte = 380
; TotalNumSgprs: 13
; NumVgprs: 6
; ScratchSize: 0
; MemoryBound: 0
; FloatMode: 240
; IeeeMode: 1
; LDSByteSize: 0 bytes/workgroup (compile time only)
; SGPRBlocks: 0
; VGPRBlocks: 0
; NumSGPRsForWavesPerEU: 13
; NumVGPRsForWavesPerEU: 6
; NamedBarCnt: 0
; Occupancy: 16
; WaveLimiterHint : 0
; COMPUTE_PGM_RSRC2:SCRATCH_EN: 0
; COMPUTE_PGM_RSRC2:USER_SGPR: 2
; COMPUTE_PGM_RSRC2:TRAP_HANDLER: 0
; COMPUTE_PGM_RSRC2:TGID_X_EN: 1
; COMPUTE_PGM_RSRC2:TGID_Y_EN: 0
; COMPUTE_PGM_RSRC2:TGID_Z_EN: 0
; COMPUTE_PGM_RSRC2:TIDIG_COMP_CNT: 0
	.section	.text._ZN9rocsparseL36csrmmnn_nnz_split_compute_row_limitsILj256ELj256EliEEvT2_T1_S2_PKS2_PS1_21rocsparse_index_base_,"axG",@progbits,_ZN9rocsparseL36csrmmnn_nnz_split_compute_row_limitsILj256ELj256EliEEvT2_T1_S2_PKS2_PS1_21rocsparse_index_base_,comdat
	.globl	_ZN9rocsparseL36csrmmnn_nnz_split_compute_row_limitsILj256ELj256EliEEvT2_T1_S2_PKS2_PS1_21rocsparse_index_base_ ; -- Begin function _ZN9rocsparseL36csrmmnn_nnz_split_compute_row_limitsILj256ELj256EliEEvT2_T1_S2_PKS2_PS1_21rocsparse_index_base_
	.p2align	8
	.type	_ZN9rocsparseL36csrmmnn_nnz_split_compute_row_limitsILj256ELj256EliEEvT2_T1_S2_PKS2_PS1_21rocsparse_index_base_,@function
_ZN9rocsparseL36csrmmnn_nnz_split_compute_row_limitsILj256ELj256EliEEvT2_T1_S2_PKS2_PS1_21rocsparse_index_base_: ; @_ZN9rocsparseL36csrmmnn_nnz_split_compute_row_limitsILj256ELj256EliEEvT2_T1_S2_PKS2_PS1_21rocsparse_index_base_
; %bb.0:
	s_load_b64 s[4:5], s[0:1], 0x8
	s_bfe_u32 s2, ttmp6, 0x4000c
	s_and_b32 s3, ttmp6, 15
	s_add_co_i32 s2, s2, 1
	s_getreg_b32 s6, hwreg(HW_REG_IB_STS2, 6, 4)
	s_mul_i32 s2, ttmp9, s2
	v_mov_b32_e32 v4, 0
	s_add_co_i32 s3, s3, s2
	s_cmp_eq_u32 s6, 0
	s_cselect_b32 s2, ttmp9, s3
	s_delay_alu instid0(VALU_DEP_1) | instskip(SKIP_4) | instid1(VALU_DEP_1)
	v_mov_b32_e32 v1, v4
	v_lshl_or_b32 v0, s2, 8, v0
	s_mov_b32 s3, 0
	s_mov_b32 s2, exec_lo
	s_wait_kmcnt 0x0
	v_cmpx_gt_i64_e64 s[4:5], v[0:1]
	s_cbranch_execz .LBB1_7
; %bb.1:
	s_clause 0x2
	s_load_b64 s[6:7], s[0:1], 0x18
	s_load_b32 s2, s[0:1], 0x28
	s_load_b32 s8, s[0:1], 0x0
	v_lshlrev_b64_e32 v[2:3], 8, v[0:1]
	s_wait_kmcnt 0x0
	s_load_b64 s[10:11], s[6:7], 0x0
	s_delay_alu instid0(VALU_DEP_1) | instskip(SKIP_3) | instid1(VALU_DEP_1)
	v_add_nc_u64_e32 v[2:3], s[2:3], v[2:3]
	s_cmp_gt_i32 s8, 1
	s_cselect_b32 s2, -1, 0
	s_wait_kmcnt 0x0
	v_cmp_lt_i64_e32 vcc_lo, s[10:11], v[2:3]
	s_and_b32 s2, vcc_lo, s2
	s_delay_alu instid0(SALU_CYCLE_1)
	s_and_saveexec_b32 s9, s2
	s_cbranch_execz .LBB1_5
; %bb.2:
	s_lshr_b32 s2, s8, 1
	s_delay_alu instid0(SALU_CYCLE_1)
	v_dual_mov_b32 v5, s8 :: v_dual_mov_b32 v6, s2
	v_mov_b32_e32 v4, 0
	s_mov_b32 s10, 0
.LBB1_3:                                ; =>This Inner Loop Header: Depth=1
	global_load_b64 v[8:9], v6, s[6:7] scale_offset
	s_wait_loadcnt 0x0
	v_cmp_gt_i64_e32 vcc_lo, v[8:9], v[2:3]
	v_dual_cndmask_b32 v4, v6, v4 :: v_dual_cndmask_b32 v5, v5, v6
	global_load_b64 v[8:9], v4, s[6:7] scale_offset
	v_add_nc_u32_e32 v6, v4, v5
	s_delay_alu instid0(VALU_DEP_1) | instskip(NEXT) | instid1(VALU_DEP_1)
	v_lshrrev_b32_e32 v6, 1, v6
	v_cmp_ge_i32_e64 s2, v4, v6
	v_cmp_le_i32_e64 s3, v5, v6
	s_wait_loadcnt 0x0
	v_cmp_ge_i64_e32 vcc_lo, v[8:9], v[2:3]
	s_or_b32 s2, vcc_lo, s2
	s_delay_alu instid0(SALU_CYCLE_1) | instskip(NEXT) | instid1(SALU_CYCLE_1)
	s_or_b32 s2, s2, s3
	s_and_b32 s2, exec_lo, s2
	s_delay_alu instid0(SALU_CYCLE_1) | instskip(NEXT) | instid1(SALU_CYCLE_1)
	s_or_b32 s10, s2, s10
	s_and_not1_b32 exec_lo, exec_lo, s10
	s_cbranch_execnz .LBB1_3
; %bb.4:
	s_or_b32 exec_lo, exec_lo, s10
.LBB1_5:
	s_delay_alu instid0(SALU_CYCLE_1) | instskip(SKIP_2) | instid1(SALU_CYCLE_1)
	s_or_b32 exec_lo, exec_lo, s9
	s_load_b64 s[0:1], s[0:1], 0x20
	s_add_nc_u64 s[2:3], s[4:5], -1
	v_cmp_eq_u64_e32 vcc_lo, s[2:3], v[0:1]
	s_wait_kmcnt 0x0
	v_lshl_add_u64 v[0:1], v[0:1], 2, s[0:1]
	global_store_b32 v[0:1], v4, off
	s_wait_xcnt 0x0
	s_and_b32 exec_lo, exec_lo, vcc_lo
	s_cbranch_execz .LBB1_7
; %bb.6:
	v_mov_b32_e32 v2, s8
	global_store_b32 v[0:1], v2, off offset:4
.LBB1_7:
	s_endpgm
	.section	.rodata,"a",@progbits
	.p2align	6, 0x0
	.amdhsa_kernel _ZN9rocsparseL36csrmmnn_nnz_split_compute_row_limitsILj256ELj256EliEEvT2_T1_S2_PKS2_PS1_21rocsparse_index_base_
		.amdhsa_group_segment_fixed_size 0
		.amdhsa_private_segment_fixed_size 0
		.amdhsa_kernarg_size 44
		.amdhsa_user_sgpr_count 2
		.amdhsa_user_sgpr_dispatch_ptr 0
		.amdhsa_user_sgpr_queue_ptr 0
		.amdhsa_user_sgpr_kernarg_segment_ptr 1
		.amdhsa_user_sgpr_dispatch_id 0
		.amdhsa_user_sgpr_kernarg_preload_length 0
		.amdhsa_user_sgpr_kernarg_preload_offset 0
		.amdhsa_user_sgpr_private_segment_size 0
		.amdhsa_wavefront_size32 1
		.amdhsa_uses_dynamic_stack 0
		.amdhsa_enable_private_segment 0
		.amdhsa_system_sgpr_workgroup_id_x 1
		.amdhsa_system_sgpr_workgroup_id_y 0
		.amdhsa_system_sgpr_workgroup_id_z 0
		.amdhsa_system_sgpr_workgroup_info 0
		.amdhsa_system_vgpr_workitem_id 0
		.amdhsa_next_free_vgpr 10
		.amdhsa_next_free_sgpr 12
		.amdhsa_named_barrier_count 0
		.amdhsa_reserve_vcc 1
		.amdhsa_float_round_mode_32 0
		.amdhsa_float_round_mode_16_64 0
		.amdhsa_float_denorm_mode_32 3
		.amdhsa_float_denorm_mode_16_64 3
		.amdhsa_fp16_overflow 0
		.amdhsa_memory_ordered 1
		.amdhsa_forward_progress 1
		.amdhsa_inst_pref_size 4
		.amdhsa_round_robin_scheduling 0
		.amdhsa_exception_fp_ieee_invalid_op 0
		.amdhsa_exception_fp_denorm_src 0
		.amdhsa_exception_fp_ieee_div_zero 0
		.amdhsa_exception_fp_ieee_overflow 0
		.amdhsa_exception_fp_ieee_underflow 0
		.amdhsa_exception_fp_ieee_inexact 0
		.amdhsa_exception_int_div_zero 0
	.end_amdhsa_kernel
	.section	.text._ZN9rocsparseL36csrmmnn_nnz_split_compute_row_limitsILj256ELj256EliEEvT2_T1_S2_PKS2_PS1_21rocsparse_index_base_,"axG",@progbits,_ZN9rocsparseL36csrmmnn_nnz_split_compute_row_limitsILj256ELj256EliEEvT2_T1_S2_PKS2_PS1_21rocsparse_index_base_,comdat
.Lfunc_end1:
	.size	_ZN9rocsparseL36csrmmnn_nnz_split_compute_row_limitsILj256ELj256EliEEvT2_T1_S2_PKS2_PS1_21rocsparse_index_base_, .Lfunc_end1-_ZN9rocsparseL36csrmmnn_nnz_split_compute_row_limitsILj256ELj256EliEEvT2_T1_S2_PKS2_PS1_21rocsparse_index_base_
                                        ; -- End function
	.set _ZN9rocsparseL36csrmmnn_nnz_split_compute_row_limitsILj256ELj256EliEEvT2_T1_S2_PKS2_PS1_21rocsparse_index_base_.num_vgpr, 10
	.set _ZN9rocsparseL36csrmmnn_nnz_split_compute_row_limitsILj256ELj256EliEEvT2_T1_S2_PKS2_PS1_21rocsparse_index_base_.num_agpr, 0
	.set _ZN9rocsparseL36csrmmnn_nnz_split_compute_row_limitsILj256ELj256EliEEvT2_T1_S2_PKS2_PS1_21rocsparse_index_base_.numbered_sgpr, 12
	.set _ZN9rocsparseL36csrmmnn_nnz_split_compute_row_limitsILj256ELj256EliEEvT2_T1_S2_PKS2_PS1_21rocsparse_index_base_.num_named_barrier, 0
	.set _ZN9rocsparseL36csrmmnn_nnz_split_compute_row_limitsILj256ELj256EliEEvT2_T1_S2_PKS2_PS1_21rocsparse_index_base_.private_seg_size, 0
	.set _ZN9rocsparseL36csrmmnn_nnz_split_compute_row_limitsILj256ELj256EliEEvT2_T1_S2_PKS2_PS1_21rocsparse_index_base_.uses_vcc, 1
	.set _ZN9rocsparseL36csrmmnn_nnz_split_compute_row_limitsILj256ELj256EliEEvT2_T1_S2_PKS2_PS1_21rocsparse_index_base_.uses_flat_scratch, 0
	.set _ZN9rocsparseL36csrmmnn_nnz_split_compute_row_limitsILj256ELj256EliEEvT2_T1_S2_PKS2_PS1_21rocsparse_index_base_.has_dyn_sized_stack, 0
	.set _ZN9rocsparseL36csrmmnn_nnz_split_compute_row_limitsILj256ELj256EliEEvT2_T1_S2_PKS2_PS1_21rocsparse_index_base_.has_recursion, 0
	.set _ZN9rocsparseL36csrmmnn_nnz_split_compute_row_limitsILj256ELj256EliEEvT2_T1_S2_PKS2_PS1_21rocsparse_index_base_.has_indirect_call, 0
	.section	.AMDGPU.csdata,"",@progbits
; Kernel info:
; codeLenInByte = 388
; TotalNumSgprs: 14
; NumVgprs: 10
; ScratchSize: 0
; MemoryBound: 0
; FloatMode: 240
; IeeeMode: 1
; LDSByteSize: 0 bytes/workgroup (compile time only)
; SGPRBlocks: 0
; VGPRBlocks: 0
; NumSGPRsForWavesPerEU: 14
; NumVGPRsForWavesPerEU: 10
; NamedBarCnt: 0
; Occupancy: 16
; WaveLimiterHint : 0
; COMPUTE_PGM_RSRC2:SCRATCH_EN: 0
; COMPUTE_PGM_RSRC2:USER_SGPR: 2
; COMPUTE_PGM_RSRC2:TRAP_HANDLER: 0
; COMPUTE_PGM_RSRC2:TGID_X_EN: 1
; COMPUTE_PGM_RSRC2:TGID_Y_EN: 0
; COMPUTE_PGM_RSRC2:TGID_Z_EN: 0
; COMPUTE_PGM_RSRC2:TIDIG_COMP_CNT: 0
	.section	.text._ZN9rocsparseL36csrmmnn_nnz_split_compute_row_limitsILj256ELj256EllEEvT2_T1_S2_PKS2_PS1_21rocsparse_index_base_,"axG",@progbits,_ZN9rocsparseL36csrmmnn_nnz_split_compute_row_limitsILj256ELj256EllEEvT2_T1_S2_PKS2_PS1_21rocsparse_index_base_,comdat
	.globl	_ZN9rocsparseL36csrmmnn_nnz_split_compute_row_limitsILj256ELj256EllEEvT2_T1_S2_PKS2_PS1_21rocsparse_index_base_ ; -- Begin function _ZN9rocsparseL36csrmmnn_nnz_split_compute_row_limitsILj256ELj256EllEEvT2_T1_S2_PKS2_PS1_21rocsparse_index_base_
	.p2align	8
	.type	_ZN9rocsparseL36csrmmnn_nnz_split_compute_row_limitsILj256ELj256EllEEvT2_T1_S2_PKS2_PS1_21rocsparse_index_base_,@function
_ZN9rocsparseL36csrmmnn_nnz_split_compute_row_limitsILj256ELj256EllEEvT2_T1_S2_PKS2_PS1_21rocsparse_index_base_: ; @_ZN9rocsparseL36csrmmnn_nnz_split_compute_row_limitsILj256ELj256EllEEvT2_T1_S2_PKS2_PS1_21rocsparse_index_base_
; %bb.0:
	s_load_b128 s[4:7], s[0:1], 0x0
	s_bfe_u32 s2, ttmp6, 0x4000c
	s_and_b32 s3, ttmp6, 15
	s_add_co_i32 s2, s2, 1
	s_getreg_b32 s8, hwreg(HW_REG_IB_STS2, 6, 4)
	s_mul_i32 s2, ttmp9, s2
	v_mov_b32_e32 v1, 0
	s_add_co_i32 s3, s3, s2
	s_cmp_eq_u32 s8, 0
	s_cselect_b32 s2, ttmp9, s3
	s_mov_b32 s3, 0
	v_lshl_or_b32 v0, s2, 8, v0
	s_mov_b32 s2, exec_lo
	s_wait_kmcnt 0x0
	s_delay_alu instid0(VALU_DEP_1)
	v_cmpx_gt_i64_e64 s[6:7], v[0:1]
	s_cbranch_execz .LBB2_7
; %bb.1:
	s_clause 0x1
	s_load_b64 s[8:9], s[0:1], 0x18
	s_load_b32 s2, s[0:1], 0x28
	v_lshlrev_b64_e32 v[2:3], 8, v[0:1]
	s_wait_kmcnt 0x0
	s_load_b64 s[10:11], s[8:9], 0x0
	s_delay_alu instid0(VALU_DEP_1) | instskip(SKIP_3) | instid1(VALU_DEP_3)
	v_add_nc_u64_e32 v[4:5], s[2:3], v[2:3]
	v_cmp_gt_i64_e64 s2, s[4:5], 1
	v_mov_b64_e32 v[2:3], 0
	s_wait_kmcnt 0x0
	v_cmp_lt_i64_e32 vcc_lo, s[10:11], v[4:5]
	s_and_b32 s2, vcc_lo, s2
	s_delay_alu instid0(SALU_CYCLE_1)
	s_and_saveexec_b32 s10, s2
	s_cbranch_execz .LBB2_5
; %bb.2:
	s_lshr_b64 s[2:3], s[4:5], 1
	v_mov_b64_e32 v[2:3], 0
	v_mov_b64_e32 v[8:9], s[2:3]
	;; [unrolled: 1-line block ×3, first 2 shown]
	s_mov_b32 s11, 0
.LBB2_3:                                ; =>This Inner Loop Header: Depth=1
	s_delay_alu instid0(VALU_DEP_2)
	v_lshl_add_u64 v[10:11], v[8:9], 3, s[8:9]
	global_load_b64 v[10:11], v[10:11], off
	s_wait_loadcnt 0x0
	v_cmp_gt_i64_e32 vcc_lo, v[10:11], v[4:5]
	v_dual_cndmask_b32 v3, v9, v3 :: v_dual_cndmask_b32 v2, v8, v2
	v_dual_cndmask_b32 v7, v7, v9 :: v_dual_cndmask_b32 v6, v6, v8
	s_delay_alu instid0(VALU_DEP_2) | instskip(NEXT) | instid1(VALU_DEP_2)
	v_lshl_add_u64 v[10:11], v[2:3], 3, s[8:9]
	v_add_nc_u64_e32 v[8:9], v[2:3], v[6:7]
	global_load_b64 v[10:11], v[10:11], off
	v_lshrrev_b64 v[8:9], 1, v[8:9]
	s_delay_alu instid0(VALU_DEP_1) | instskip(SKIP_4) | instid1(SALU_CYCLE_1)
	v_cmp_ge_i64_e32 vcc_lo, v[2:3], v[8:9]
	v_cmp_le_i64_e64 s3, v[6:7], v[8:9]
	s_wait_loadcnt 0x0
	v_cmp_ge_i64_e64 s2, v[10:11], v[4:5]
	s_or_b32 s2, s2, vcc_lo
	s_or_b32 s2, s2, s3
	s_delay_alu instid0(SALU_CYCLE_1) | instskip(NEXT) | instid1(SALU_CYCLE_1)
	s_and_b32 s2, exec_lo, s2
	s_or_b32 s11, s2, s11
	s_delay_alu instid0(SALU_CYCLE_1)
	s_and_not1_b32 exec_lo, exec_lo, s11
	s_cbranch_execnz .LBB2_3
; %bb.4:
	s_or_b32 exec_lo, exec_lo, s11
.LBB2_5:
	s_delay_alu instid0(SALU_CYCLE_1) | instskip(SKIP_2) | instid1(SALU_CYCLE_1)
	s_or_b32 exec_lo, exec_lo, s10
	s_load_b64 s[0:1], s[0:1], 0x20
	s_add_nc_u64 s[2:3], s[6:7], -1
	v_cmp_eq_u64_e32 vcc_lo, s[2:3], v[0:1]
	s_wait_kmcnt 0x0
	v_lshl_add_u64 v[0:1], v[0:1], 3, s[0:1]
	global_store_b64 v[0:1], v[2:3], off
	s_wait_xcnt 0x0
	s_and_b32 exec_lo, exec_lo, vcc_lo
	s_cbranch_execz .LBB2_7
; %bb.6:
	v_mov_b64_e32 v[2:3], s[4:5]
	global_store_b64 v[0:1], v[2:3], off offset:8
.LBB2_7:
	s_endpgm
	.section	.rodata,"a",@progbits
	.p2align	6, 0x0
	.amdhsa_kernel _ZN9rocsparseL36csrmmnn_nnz_split_compute_row_limitsILj256ELj256EllEEvT2_T1_S2_PKS2_PS1_21rocsparse_index_base_
		.amdhsa_group_segment_fixed_size 0
		.amdhsa_private_segment_fixed_size 0
		.amdhsa_kernarg_size 44
		.amdhsa_user_sgpr_count 2
		.amdhsa_user_sgpr_dispatch_ptr 0
		.amdhsa_user_sgpr_queue_ptr 0
		.amdhsa_user_sgpr_kernarg_segment_ptr 1
		.amdhsa_user_sgpr_dispatch_id 0
		.amdhsa_user_sgpr_kernarg_preload_length 0
		.amdhsa_user_sgpr_kernarg_preload_offset 0
		.amdhsa_user_sgpr_private_segment_size 0
		.amdhsa_wavefront_size32 1
		.amdhsa_uses_dynamic_stack 0
		.amdhsa_enable_private_segment 0
		.amdhsa_system_sgpr_workgroup_id_x 1
		.amdhsa_system_sgpr_workgroup_id_y 0
		.amdhsa_system_sgpr_workgroup_id_z 0
		.amdhsa_system_sgpr_workgroup_info 0
		.amdhsa_system_vgpr_workitem_id 0
		.amdhsa_next_free_vgpr 12
		.amdhsa_next_free_sgpr 12
		.amdhsa_named_barrier_count 0
		.amdhsa_reserve_vcc 1
		.amdhsa_float_round_mode_32 0
		.amdhsa_float_round_mode_16_64 0
		.amdhsa_float_denorm_mode_32 3
		.amdhsa_float_denorm_mode_16_64 3
		.amdhsa_fp16_overflow 0
		.amdhsa_memory_ordered 1
		.amdhsa_forward_progress 1
		.amdhsa_inst_pref_size 4
		.amdhsa_round_robin_scheduling 0
		.amdhsa_exception_fp_ieee_invalid_op 0
		.amdhsa_exception_fp_denorm_src 0
		.amdhsa_exception_fp_ieee_div_zero 0
		.amdhsa_exception_fp_ieee_overflow 0
		.amdhsa_exception_fp_ieee_underflow 0
		.amdhsa_exception_fp_ieee_inexact 0
		.amdhsa_exception_int_div_zero 0
	.end_amdhsa_kernel
	.section	.text._ZN9rocsparseL36csrmmnn_nnz_split_compute_row_limitsILj256ELj256EllEEvT2_T1_S2_PKS2_PS1_21rocsparse_index_base_,"axG",@progbits,_ZN9rocsparseL36csrmmnn_nnz_split_compute_row_limitsILj256ELj256EllEEvT2_T1_S2_PKS2_PS1_21rocsparse_index_base_,comdat
.Lfunc_end2:
	.size	_ZN9rocsparseL36csrmmnn_nnz_split_compute_row_limitsILj256ELj256EllEEvT2_T1_S2_PKS2_PS1_21rocsparse_index_base_, .Lfunc_end2-_ZN9rocsparseL36csrmmnn_nnz_split_compute_row_limitsILj256ELj256EllEEvT2_T1_S2_PKS2_PS1_21rocsparse_index_base_
                                        ; -- End function
	.set _ZN9rocsparseL36csrmmnn_nnz_split_compute_row_limitsILj256ELj256EllEEvT2_T1_S2_PKS2_PS1_21rocsparse_index_base_.num_vgpr, 12
	.set _ZN9rocsparseL36csrmmnn_nnz_split_compute_row_limitsILj256ELj256EllEEvT2_T1_S2_PKS2_PS1_21rocsparse_index_base_.num_agpr, 0
	.set _ZN9rocsparseL36csrmmnn_nnz_split_compute_row_limitsILj256ELj256EllEEvT2_T1_S2_PKS2_PS1_21rocsparse_index_base_.numbered_sgpr, 12
	.set _ZN9rocsparseL36csrmmnn_nnz_split_compute_row_limitsILj256ELj256EllEEvT2_T1_S2_PKS2_PS1_21rocsparse_index_base_.num_named_barrier, 0
	.set _ZN9rocsparseL36csrmmnn_nnz_split_compute_row_limitsILj256ELj256EllEEvT2_T1_S2_PKS2_PS1_21rocsparse_index_base_.private_seg_size, 0
	.set _ZN9rocsparseL36csrmmnn_nnz_split_compute_row_limitsILj256ELj256EllEEvT2_T1_S2_PKS2_PS1_21rocsparse_index_base_.uses_vcc, 1
	.set _ZN9rocsparseL36csrmmnn_nnz_split_compute_row_limitsILj256ELj256EllEEvT2_T1_S2_PKS2_PS1_21rocsparse_index_base_.uses_flat_scratch, 0
	.set _ZN9rocsparseL36csrmmnn_nnz_split_compute_row_limitsILj256ELj256EllEEvT2_T1_S2_PKS2_PS1_21rocsparse_index_base_.has_dyn_sized_stack, 0
	.set _ZN9rocsparseL36csrmmnn_nnz_split_compute_row_limitsILj256ELj256EllEEvT2_T1_S2_PKS2_PS1_21rocsparse_index_base_.has_recursion, 0
	.set _ZN9rocsparseL36csrmmnn_nnz_split_compute_row_limitsILj256ELj256EllEEvT2_T1_S2_PKS2_PS1_21rocsparse_index_base_.has_indirect_call, 0
	.section	.AMDGPU.csdata,"",@progbits
; Kernel info:
; codeLenInByte = 412
; TotalNumSgprs: 14
; NumVgprs: 12
; ScratchSize: 0
; MemoryBound: 0
; FloatMode: 240
; IeeeMode: 1
; LDSByteSize: 0 bytes/workgroup (compile time only)
; SGPRBlocks: 0
; VGPRBlocks: 0
; NumSGPRsForWavesPerEU: 14
; NumVGPRsForWavesPerEU: 12
; NamedBarCnt: 0
; Occupancy: 16
; WaveLimiterHint : 0
; COMPUTE_PGM_RSRC2:SCRATCH_EN: 0
; COMPUTE_PGM_RSRC2:USER_SGPR: 2
; COMPUTE_PGM_RSRC2:TRAP_HANDLER: 0
; COMPUTE_PGM_RSRC2:TGID_X_EN: 1
; COMPUTE_PGM_RSRC2:TGID_Y_EN: 0
; COMPUTE_PGM_RSRC2:TGID_Z_EN: 0
; COMPUTE_PGM_RSRC2:TIDIG_COMP_CNT: 0
	.section	.text._ZN9rocsparseL28csrmmnn_general_block_reduceILj1024EiiffEEvT0_PKT1_PKT3_PT2_l16rocsparse_order_,"axG",@progbits,_ZN9rocsparseL28csrmmnn_general_block_reduceILj1024EiiffEEvT0_PKT1_PKT3_PT2_l16rocsparse_order_,comdat
	.globl	_ZN9rocsparseL28csrmmnn_general_block_reduceILj1024EiiffEEvT0_PKT1_PKT3_PT2_l16rocsparse_order_ ; -- Begin function _ZN9rocsparseL28csrmmnn_general_block_reduceILj1024EiiffEEvT0_PKT1_PKT3_PT2_l16rocsparse_order_
	.p2align	8
	.type	_ZN9rocsparseL28csrmmnn_general_block_reduceILj1024EiiffEEvT0_PKT1_PKT3_PT2_l16rocsparse_order_,@function
_ZN9rocsparseL28csrmmnn_general_block_reduceILj1024EiiffEEvT0_PKT1_PKT3_PT2_l16rocsparse_order_: ; @_ZN9rocsparseL28csrmmnn_general_block_reduceILj1024EiiffEEvT0_PKT1_PKT3_PT2_l16rocsparse_order_
; %bb.0:
	s_load_b32 s22, s[0:1], 0x0
	v_dual_mov_b32 v2, -1 :: v_dual_lshlrev_b32 v1, 2, v0
	v_mov_b32_e32 v3, 0
	s_mov_b32 s2, exec_lo
	ds_store_2addr_stride64_b32 v1, v2, v3 offset1:16
	s_wait_dscnt 0x0
	s_barrier_signal -1
	s_barrier_wait -1
	s_wait_kmcnt 0x0
	v_cmpx_gt_i32_e64 s22, v0
	s_cbranch_execz .LBB3_50
; %bb.1:
	s_clause 0x1
	s_load_b32 s10, s[0:1], 0x28
	s_load_b256 s[12:19], s[0:1], 0x8
	s_bfe_u32 s2, ttmp6, 0x4000c
	s_and_b32 s3, ttmp6, 15
	s_add_co_i32 s2, s2, 1
	s_getreg_b32 s4, hwreg(HW_REG_IB_STS2, 6, 4)
	s_mul_i32 s2, ttmp9, s2
	v_or_b32_e32 v4, 0x1000, v1
	s_add_co_i32 s3, s3, s2
	s_cmp_eq_u32 s4, 0
	s_wait_xcnt 0x0
	v_cmp_ne_u32_e64 s0, 0, v0
	s_cselect_b32 s20, ttmp9, s3
	v_dual_add_nc_u32 v5, -4, v1 :: v_dual_add_nc_u32 v6, -4, v4
	v_cmp_lt_u32_e64 s1, 1, v0
	v_dual_add_nc_u32 v7, -8, v1 :: v_dual_add_nc_u32 v8, -8, v4
	v_cmp_lt_u32_e64 s2, 3, v0
	v_dual_add_nc_u32 v9, -16, v1 :: v_dual_add_nc_u32 v10, -16, v4
	s_wait_kmcnt 0x0
	s_cmp_lg_u32 s10, 1
	v_cmp_lt_u32_e64 s3, 7, v0
	s_cselect_b32 s25, -1, 0
	s_ashr_i32 s21, s20, 31
	v_subrev_nc_u32_e32 v11, 32, v1
	s_mul_u64 s[26:27], s[18:19], s[20:21]
	v_subrev_nc_u32_e32 v12, 32, v4
	v_cmp_lt_u32_e64 s4, 15, v0
	v_subrev_nc_u32_e32 v13, 64, v1
	v_subrev_nc_u32_e32 v14, 64, v4
	v_cmp_lt_u32_e64 s5, 31, v0
	v_add_nc_u32_e32 v15, 0xffffff80, v1
	v_add_nc_u32_e32 v16, 0xffffff80, v4
	v_cmp_lt_u32_e64 s6, 63, v0
	v_add_nc_u32_e32 v17, 0xffffff00, v1
	v_add_nc_u32_e32 v18, 0xffffff00, v4
	;; [unrolled: 3-line block ×5, first 2 shown]
	v_cmp_ne_u32_e64 s10, 0x3ff, v0
	s_mul_i32 s24, s22, s20
	s_lshl_b64 s[20:21], s[20:21], 2
	s_lshl_b64 s[26:27], s[26:27], 2
	s_mov_b32 s23, 0
	s_add_nc_u64 s[20:21], s[16:17], s[20:21]
	s_add_nc_u64 s[16:17], s[16:17], s[26:27]
	s_branch .LBB3_3
.LBB3_2:                                ;   in Loop: Header=BB3_3 Depth=1
	s_wait_xcnt 0x0
	s_or_b32 exec_lo, exec_lo, s11
	v_add_nc_u32_e32 v0, 0x400, v0
	s_wait_storecnt 0x0
	s_barrier_signal -1
	s_barrier_wait -1
	s_delay_alu instid0(VALU_DEP_1) | instskip(SKIP_1) | instid1(SALU_CYCLE_1)
	v_cmp_le_i32_e32 vcc_lo, s22, v0
	s_or_b32 s23, vcc_lo, s23
	s_and_not1_b32 exec_lo, exec_lo, s23
	s_cbranch_execz .LBB3_50
.LBB3_3:                                ; =>This Inner Loop Header: Depth=1
	v_dual_mov_b32 v25, 0 :: v_dual_add_nc_u32 v2, s24, v0
	global_load_b32 v26, v0, s[12:13] scale_offset
	global_load_b32 v27, v2, s[14:15] scale_offset
	s_wait_xcnt 0x0
	v_mov_b32_e32 v2, 0
	s_wait_loadcnt 0x1
	ds_store_b32 v1, v26
	s_wait_loadcnt 0x0
	ds_store_b32 v4, v27
	s_wait_dscnt 0x0
	s_barrier_signal -1
	s_barrier_wait -1
	s_and_saveexec_b32 s11, s0
	s_cbranch_execz .LBB3_7
; %bb.4:                                ;   in Loop: Header=BB3_3 Depth=1
	ds_load_2addr_b32 v[26:27], v5 offset1:1
	v_mov_b32_e32 v25, 0
	s_mov_b32 s26, exec_lo
	s_wait_dscnt 0x0
	v_cmpx_eq_u32_e64 v27, v26
; %bb.5:                                ;   in Loop: Header=BB3_3 Depth=1
	ds_load_b32 v25, v6
; %bb.6:                                ;   in Loop: Header=BB3_3 Depth=1
	s_or_b32 exec_lo, exec_lo, s26
.LBB3_7:                                ;   in Loop: Header=BB3_3 Depth=1
	s_delay_alu instid0(SALU_CYCLE_1)
	s_or_b32 exec_lo, exec_lo, s11
	s_wait_dscnt 0x0
	s_barrier_signal -1
	s_barrier_wait -1
	ds_load_b32 v26, v4
	s_wait_dscnt 0x0
	v_add_f32_e32 v25, v25, v26
	ds_store_b32 v4, v25
	s_wait_dscnt 0x0
	s_barrier_signal -1
	s_barrier_wait -1
	s_and_saveexec_b32 s11, s1
	s_cbranch_execz .LBB3_11
; %bb.8:                                ;   in Loop: Header=BB3_3 Depth=1
	ds_load_b32 v2, v1
	ds_load_b32 v25, v7
	s_wait_dscnt 0x0
	v_cmp_eq_u32_e32 vcc_lo, v2, v25
	v_mov_b32_e32 v2, 0
	s_and_saveexec_b32 s26, vcc_lo
; %bb.9:                                ;   in Loop: Header=BB3_3 Depth=1
	ds_load_b32 v2, v8
; %bb.10:                               ;   in Loop: Header=BB3_3 Depth=1
	s_or_b32 exec_lo, exec_lo, s26
.LBB3_11:                               ;   in Loop: Header=BB3_3 Depth=1
	s_delay_alu instid0(SALU_CYCLE_1)
	s_or_b32 exec_lo, exec_lo, s11
	s_wait_dscnt 0x0
	s_barrier_signal -1
	s_barrier_wait -1
	ds_load_b32 v25, v4
	s_wait_dscnt 0x0
	v_dual_add_f32 v26, v2, v25 :: v_dual_mov_b32 v2, 0
	v_mov_b32_e32 v25, 0
	ds_store_b32 v4, v26
	s_wait_dscnt 0x0
	s_barrier_signal -1
	s_barrier_wait -1
	s_and_saveexec_b32 s11, s2
	s_cbranch_execz .LBB3_15
; %bb.12:                               ;   in Loop: Header=BB3_3 Depth=1
	ds_load_b32 v25, v1
	ds_load_b32 v26, v9
	s_wait_dscnt 0x0
	v_cmp_eq_u32_e32 vcc_lo, v25, v26
	v_mov_b32_e32 v25, 0
	s_and_saveexec_b32 s26, vcc_lo
; %bb.13:                               ;   in Loop: Header=BB3_3 Depth=1
	ds_load_b32 v25, v10
; %bb.14:                               ;   in Loop: Header=BB3_3 Depth=1
	s_or_b32 exec_lo, exec_lo, s26
.LBB3_15:                               ;   in Loop: Header=BB3_3 Depth=1
	s_delay_alu instid0(SALU_CYCLE_1)
	s_or_b32 exec_lo, exec_lo, s11
	s_wait_dscnt 0x0
	s_barrier_signal -1
	s_barrier_wait -1
	ds_load_b32 v26, v4
	s_wait_dscnt 0x0
	v_add_f32_e32 v25, v25, v26
	ds_store_b32 v4, v25
	s_wait_dscnt 0x0
	s_barrier_signal -1
	s_barrier_wait -1
	s_and_saveexec_b32 s11, s3
	s_cbranch_execz .LBB3_19
; %bb.16:                               ;   in Loop: Header=BB3_3 Depth=1
	ds_load_b32 v2, v1
	ds_load_b32 v25, v11
	s_wait_dscnt 0x0
	v_cmp_eq_u32_e32 vcc_lo, v2, v25
	v_mov_b32_e32 v2, 0
	s_and_saveexec_b32 s26, vcc_lo
; %bb.17:                               ;   in Loop: Header=BB3_3 Depth=1
	ds_load_b32 v2, v12
; %bb.18:                               ;   in Loop: Header=BB3_3 Depth=1
	s_or_b32 exec_lo, exec_lo, s26
.LBB3_19:                               ;   in Loop: Header=BB3_3 Depth=1
	s_delay_alu instid0(SALU_CYCLE_1)
	s_or_b32 exec_lo, exec_lo, s11
	s_wait_dscnt 0x0
	s_barrier_signal -1
	s_barrier_wait -1
	ds_load_b32 v25, v4
	s_wait_dscnt 0x0
	v_dual_add_f32 v26, v2, v25 :: v_dual_mov_b32 v2, 0
	v_mov_b32_e32 v25, 0
	ds_store_b32 v4, v26
	s_wait_dscnt 0x0
	s_barrier_signal -1
	s_barrier_wait -1
	s_and_saveexec_b32 s11, s4
	s_cbranch_execz .LBB3_23
; %bb.20:                               ;   in Loop: Header=BB3_3 Depth=1
	ds_load_b32 v25, v1
	ds_load_b32 v26, v13
	s_wait_dscnt 0x0
	v_cmp_eq_u32_e32 vcc_lo, v25, v26
	v_mov_b32_e32 v25, 0
	s_and_saveexec_b32 s26, vcc_lo
; %bb.21:                               ;   in Loop: Header=BB3_3 Depth=1
	ds_load_b32 v25, v14
; %bb.22:                               ;   in Loop: Header=BB3_3 Depth=1
	s_or_b32 exec_lo, exec_lo, s26
.LBB3_23:                               ;   in Loop: Header=BB3_3 Depth=1
	s_delay_alu instid0(SALU_CYCLE_1)
	s_or_b32 exec_lo, exec_lo, s11
	s_wait_dscnt 0x0
	s_barrier_signal -1
	s_barrier_wait -1
	ds_load_b32 v26, v4
	s_wait_dscnt 0x0
	v_add_f32_e32 v25, v25, v26
	ds_store_b32 v4, v25
	s_wait_dscnt 0x0
	s_barrier_signal -1
	s_barrier_wait -1
	s_and_saveexec_b32 s11, s5
	s_cbranch_execz .LBB3_27
; %bb.24:                               ;   in Loop: Header=BB3_3 Depth=1
	ds_load_b32 v2, v1
	ds_load_b32 v25, v15
	s_wait_dscnt 0x0
	v_cmp_eq_u32_e32 vcc_lo, v2, v25
	v_mov_b32_e32 v2, 0
	s_and_saveexec_b32 s26, vcc_lo
; %bb.25:                               ;   in Loop: Header=BB3_3 Depth=1
	ds_load_b32 v2, v16
; %bb.26:                               ;   in Loop: Header=BB3_3 Depth=1
	s_or_b32 exec_lo, exec_lo, s26
.LBB3_27:                               ;   in Loop: Header=BB3_3 Depth=1
	;; [unrolled: 53-line block ×4, first 2 shown]
	s_delay_alu instid0(SALU_CYCLE_1)
	s_or_b32 exec_lo, exec_lo, s11
	s_wait_dscnt 0x0
	s_barrier_signal -1
	s_barrier_wait -1
	ds_load_b32 v25, v4
	s_wait_dscnt 0x0
	v_dual_add_f32 v2, v2, v25 :: v_dual_mov_b32 v25, -1
	ds_store_b32 v4, v2
	s_wait_dscnt 0x0
	s_barrier_signal -1
	s_barrier_wait -1
	ds_load_b32 v2, v1
	s_and_saveexec_b32 s11, s10
; %bb.44:                               ;   in Loop: Header=BB3_3 Depth=1
	ds_load_b32 v25, v1 offset:4
; %bb.45:                               ;   in Loop: Header=BB3_3 Depth=1
	s_or_b32 exec_lo, exec_lo, s11
	s_wait_dscnt 0x0
	v_cmp_ne_u32_e32 vcc_lo, v2, v25
	v_cmp_lt_i32_e64 s11, -1, v2
	s_and_b32 s26, s11, vcc_lo
	s_delay_alu instid0(SALU_CYCLE_1)
	s_and_saveexec_b32 s11, s26
	s_cbranch_execz .LBB3_2
; %bb.46:                               ;   in Loop: Header=BB3_3 Depth=1
	s_and_b32 vcc_lo, exec_lo, s25
	s_mov_b32 s26, -1
	s_cbranch_vccz .LBB3_48
; %bb.47:                               ;   in Loop: Header=BB3_3 Depth=1
	v_mul_u64_e32 v[26:27], s[18:19], v[2:3]
	ds_load_b32 v28, v4
	s_mov_b32 s26, 0
	v_lshl_add_u64 v[26:27], v[26:27], 2, s[20:21]
	global_load_b32 v25, v[26:27], off
	s_wait_loadcnt_dscnt 0x0
	v_add_f32_e32 v25, v25, v28
	global_store_b32 v[26:27], v25, off
.LBB3_48:                               ;   in Loop: Header=BB3_3 Depth=1
	s_and_not1_b32 vcc_lo, exec_lo, s26
	s_cbranch_vccnz .LBB3_2
; %bb.49:                               ;   in Loop: Header=BB3_3 Depth=1
	s_wait_xcnt 0x0
	v_lshl_add_u64 v[26:27], v[2:3], 2, s[16:17]
	ds_load_b32 v25, v4
	global_load_b32 v2, v[26:27], off
	s_wait_loadcnt_dscnt 0x0
	v_add_f32_e32 v2, v2, v25
	global_store_b32 v[26:27], v2, off
	s_branch .LBB3_2
.LBB3_50:
	s_endpgm
	.section	.rodata,"a",@progbits
	.p2align	6, 0x0
	.amdhsa_kernel _ZN9rocsparseL28csrmmnn_general_block_reduceILj1024EiiffEEvT0_PKT1_PKT3_PT2_l16rocsparse_order_
		.amdhsa_group_segment_fixed_size 8192
		.amdhsa_private_segment_fixed_size 0
		.amdhsa_kernarg_size 44
		.amdhsa_user_sgpr_count 2
		.amdhsa_user_sgpr_dispatch_ptr 0
		.amdhsa_user_sgpr_queue_ptr 0
		.amdhsa_user_sgpr_kernarg_segment_ptr 1
		.amdhsa_user_sgpr_dispatch_id 0
		.amdhsa_user_sgpr_kernarg_preload_length 0
		.amdhsa_user_sgpr_kernarg_preload_offset 0
		.amdhsa_user_sgpr_private_segment_size 0
		.amdhsa_wavefront_size32 1
		.amdhsa_uses_dynamic_stack 0
		.amdhsa_enable_private_segment 0
		.amdhsa_system_sgpr_workgroup_id_x 1
		.amdhsa_system_sgpr_workgroup_id_y 0
		.amdhsa_system_sgpr_workgroup_id_z 0
		.amdhsa_system_sgpr_workgroup_info 0
		.amdhsa_system_vgpr_workitem_id 0
		.amdhsa_next_free_vgpr 29
		.amdhsa_next_free_sgpr 28
		.amdhsa_named_barrier_count 0
		.amdhsa_reserve_vcc 1
		.amdhsa_float_round_mode_32 0
		.amdhsa_float_round_mode_16_64 0
		.amdhsa_float_denorm_mode_32 3
		.amdhsa_float_denorm_mode_16_64 3
		.amdhsa_fp16_overflow 0
		.amdhsa_memory_ordered 1
		.amdhsa_forward_progress 1
		.amdhsa_inst_pref_size 15
		.amdhsa_round_robin_scheduling 0
		.amdhsa_exception_fp_ieee_invalid_op 0
		.amdhsa_exception_fp_denorm_src 0
		.amdhsa_exception_fp_ieee_div_zero 0
		.amdhsa_exception_fp_ieee_overflow 0
		.amdhsa_exception_fp_ieee_underflow 0
		.amdhsa_exception_fp_ieee_inexact 0
		.amdhsa_exception_int_div_zero 0
	.end_amdhsa_kernel
	.section	.text._ZN9rocsparseL28csrmmnn_general_block_reduceILj1024EiiffEEvT0_PKT1_PKT3_PT2_l16rocsparse_order_,"axG",@progbits,_ZN9rocsparseL28csrmmnn_general_block_reduceILj1024EiiffEEvT0_PKT1_PKT3_PT2_l16rocsparse_order_,comdat
.Lfunc_end3:
	.size	_ZN9rocsparseL28csrmmnn_general_block_reduceILj1024EiiffEEvT0_PKT1_PKT3_PT2_l16rocsparse_order_, .Lfunc_end3-_ZN9rocsparseL28csrmmnn_general_block_reduceILj1024EiiffEEvT0_PKT1_PKT3_PT2_l16rocsparse_order_
                                        ; -- End function
	.set _ZN9rocsparseL28csrmmnn_general_block_reduceILj1024EiiffEEvT0_PKT1_PKT3_PT2_l16rocsparse_order_.num_vgpr, 29
	.set _ZN9rocsparseL28csrmmnn_general_block_reduceILj1024EiiffEEvT0_PKT1_PKT3_PT2_l16rocsparse_order_.num_agpr, 0
	.set _ZN9rocsparseL28csrmmnn_general_block_reduceILj1024EiiffEEvT0_PKT1_PKT3_PT2_l16rocsparse_order_.numbered_sgpr, 28
	.set _ZN9rocsparseL28csrmmnn_general_block_reduceILj1024EiiffEEvT0_PKT1_PKT3_PT2_l16rocsparse_order_.num_named_barrier, 0
	.set _ZN9rocsparseL28csrmmnn_general_block_reduceILj1024EiiffEEvT0_PKT1_PKT3_PT2_l16rocsparse_order_.private_seg_size, 0
	.set _ZN9rocsparseL28csrmmnn_general_block_reduceILj1024EiiffEEvT0_PKT1_PKT3_PT2_l16rocsparse_order_.uses_vcc, 1
	.set _ZN9rocsparseL28csrmmnn_general_block_reduceILj1024EiiffEEvT0_PKT1_PKT3_PT2_l16rocsparse_order_.uses_flat_scratch, 0
	.set _ZN9rocsparseL28csrmmnn_general_block_reduceILj1024EiiffEEvT0_PKT1_PKT3_PT2_l16rocsparse_order_.has_dyn_sized_stack, 0
	.set _ZN9rocsparseL28csrmmnn_general_block_reduceILj1024EiiffEEvT0_PKT1_PKT3_PT2_l16rocsparse_order_.has_recursion, 0
	.set _ZN9rocsparseL28csrmmnn_general_block_reduceILj1024EiiffEEvT0_PKT1_PKT3_PT2_l16rocsparse_order_.has_indirect_call, 0
	.section	.AMDGPU.csdata,"",@progbits
; Kernel info:
; codeLenInByte = 1856
; TotalNumSgprs: 30
; NumVgprs: 29
; ScratchSize: 0
; MemoryBound: 0
; FloatMode: 240
; IeeeMode: 1
; LDSByteSize: 8192 bytes/workgroup (compile time only)
; SGPRBlocks: 0
; VGPRBlocks: 1
; NumSGPRsForWavesPerEU: 30
; NumVGPRsForWavesPerEU: 29
; NamedBarCnt: 0
; Occupancy: 16
; WaveLimiterHint : 0
; COMPUTE_PGM_RSRC2:SCRATCH_EN: 0
; COMPUTE_PGM_RSRC2:USER_SGPR: 2
; COMPUTE_PGM_RSRC2:TRAP_HANDLER: 0
; COMPUTE_PGM_RSRC2:TGID_X_EN: 1
; COMPUTE_PGM_RSRC2:TGID_Y_EN: 0
; COMPUTE_PGM_RSRC2:TGID_Z_EN: 0
; COMPUTE_PGM_RSRC2:TIDIG_COMP_CNT: 0
	.section	.text._ZN9rocsparseL28csrmmnn_general_block_reduceILj1024EliffEEvT0_PKT1_PKT3_PT2_l16rocsparse_order_,"axG",@progbits,_ZN9rocsparseL28csrmmnn_general_block_reduceILj1024EliffEEvT0_PKT1_PKT3_PT2_l16rocsparse_order_,comdat
	.globl	_ZN9rocsparseL28csrmmnn_general_block_reduceILj1024EliffEEvT0_PKT1_PKT3_PT2_l16rocsparse_order_ ; -- Begin function _ZN9rocsparseL28csrmmnn_general_block_reduceILj1024EliffEEvT0_PKT1_PKT3_PT2_l16rocsparse_order_
	.p2align	8
	.type	_ZN9rocsparseL28csrmmnn_general_block_reduceILj1024EliffEEvT0_PKT1_PKT3_PT2_l16rocsparse_order_,@function
_ZN9rocsparseL28csrmmnn_general_block_reduceILj1024EliffEEvT0_PKT1_PKT3_PT2_l16rocsparse_order_: ; @_ZN9rocsparseL28csrmmnn_general_block_reduceILj1024EliffEEvT0_PKT1_PKT3_PT2_l16rocsparse_order_
; %bb.0:
	s_load_b64 s[20:21], s[0:1], 0x0
	v_mov_b64_e32 v[4:5], -1
	v_dual_mov_b32 v1, 0 :: v_dual_lshlrev_b32 v10, 3, v0
	v_lshlrev_b32_e32 v2, 2, v0
	s_mov_b32 s2, exec_lo
	ds_store_b64 v10, v[4:5]
	ds_store_b32 v2, v1 offset:8192
	s_wait_dscnt 0x0
	s_barrier_signal -1
	s_barrier_wait -1
	s_wait_kmcnt 0x0
	v_cmpx_gt_i64_e64 s[20:21], v[0:1]
	s_cbranch_execz .LBB4_50
; %bb.1:
	s_clause 0x1
	s_load_b32 s9, s[0:1], 0x28
	s_load_b256 s[12:19], s[0:1], 0x8
	s_bfe_u32 s2, ttmp6, 0x4000c
	s_and_b32 s3, ttmp6, 15
	s_add_co_i32 s2, s2, 1
	s_getreg_b32 s4, hwreg(HW_REG_IB_STS2, 6, 4)
	s_mul_i32 s2, ttmp9, s2
	v_or_b32_e32 v11, 0x2000, v2
	s_add_co_i32 s3, s3, s2
	s_cmp_eq_u32 s4, 0
	s_mov_b32 s23, 0
	s_cselect_b32 s22, ttmp9, s3
	v_dual_add_nc_u32 v17, -16, v11 :: v_dual_lshlrev_b32 v4, 2, v0
	s_lshl_b64 s[26:27], s[22:23], 2
	s_mul_u64 s[10:11], s[20:21], s[22:23]
	v_dual_mov_b32 v5, v1 :: v_dual_add_nc_u32 v20, 0xffffff80, v10
	s_wait_xcnt 0x0
	v_cmp_ne_u32_e64 s0, 0, v0
	v_dual_add_nc_u32 v12, -8, v10 :: v_dual_add_nc_u32 v13, -4, v11
	s_wait_kmcnt 0x0
	s_cmp_lg_u32 s9, 1
	v_cmp_lt_u32_e64 s1, 1, v0
	s_cselect_b32 s24, -1, 0
	s_lshl_b64 s[10:11], s[10:11], 2
	v_dual_add_nc_u32 v14, -16, v10 :: v_dual_add_nc_u32 v15, -8, v11
	s_add_nc_u64 s[10:11], s[14:15], s[10:11]
	v_cmp_lt_u32_e64 s2, 3, v0
	v_add_nc_u64_e32 v[2:3], s[10:11], v[4:5]
	v_add_nc_u64_e32 v[4:5], s[12:13], v[4:5]
	s_mul_u64 s[12:13], s[18:19], s[22:23]
	v_subrev_nc_u32_e32 v16, 32, v10
	v_cmp_lt_u32_e64 s3, 7, v0
	v_subrev_nc_u32_e32 v18, 64, v10
	v_subrev_nc_u32_e32 v19, 32, v11
	v_cmp_lt_u32_e64 s4, 15, v0
	v_subrev_nc_u32_e32 v21, 64, v11
	v_cmp_lt_u32_e64 s5, 31, v0
	v_add_nc_u32_e32 v22, 0xffffff00, v10
	v_add_nc_u32_e32 v23, 0xffffff80, v11
	v_cmp_lt_u32_e64 s6, 63, v0
	v_add_nc_u32_e32 v24, 0xfffffe00, v10
	v_add_nc_u32_e32 v25, 0xffffff00, v11
	;; [unrolled: 3-line block ×5, first 2 shown]
	v_cmp_ne_u32_e64 s10, 0x3ff, v0
	s_lshl_b64 s[14:15], s[12:13], 2
	s_add_nc_u64 s[12:13], s[16:17], s[26:27]
	s_add_nc_u64 s[14:15], s[16:17], s[14:15]
	s_branch .LBB4_3
.LBB4_2:                                ;   in Loop: Header=BB4_3 Depth=1
	s_wait_xcnt 0x0
	s_or_b32 exec_lo, exec_lo, s11
	v_add_nc_u64_e32 v[0:1], 0x400, v[0:1]
	v_add_nc_u64_e32 v[2:3], 0x1000, v[2:3]
	;; [unrolled: 1-line block ×3, first 2 shown]
	s_wait_storecnt 0x0
	s_barrier_signal -1
	s_barrier_wait -1
	s_delay_alu instid0(VALU_DEP_3) | instskip(SKIP_1) | instid1(SALU_CYCLE_1)
	v_cmp_le_i64_e32 vcc_lo, s[20:21], v[0:1]
	s_or_b32 s23, vcc_lo, s23
	s_and_not1_b32 exec_lo, exec_lo, s23
	s_cbranch_execz .LBB4_50
.LBB4_3:                                ; =>This Inner Loop Header: Depth=1
	global_load_b32 v8, v[4:5], off
	global_load_b32 v32, v[2:3], off
	v_dual_mov_b32 v7, 0 :: v_dual_mov_b32 v6, 0
	s_wait_loadcnt 0x1
	v_ashrrev_i32_e32 v9, 31, v8
	ds_store_b64 v10, v[8:9]
	s_wait_loadcnt 0x0
	ds_store_b32 v11, v32
	s_wait_dscnt 0x0
	s_barrier_signal -1
	s_barrier_wait -1
	s_and_saveexec_b32 s11, s0
	s_cbranch_execz .LBB4_7
; %bb.4:                                ;   in Loop: Header=BB4_3 Depth=1
	ds_load_2addr_b64 v[32:35], v12 offset1:1
	v_mov_b32_e32 v7, 0
	s_mov_b32 s16, exec_lo
	s_wait_dscnt 0x0
	v_cmpx_eq_u64_e64 v[34:35], v[32:33]
; %bb.5:                                ;   in Loop: Header=BB4_3 Depth=1
	ds_load_b32 v7, v13
; %bb.6:                                ;   in Loop: Header=BB4_3 Depth=1
	s_or_b32 exec_lo, exec_lo, s16
.LBB4_7:                                ;   in Loop: Header=BB4_3 Depth=1
	s_delay_alu instid0(SALU_CYCLE_1)
	s_or_b32 exec_lo, exec_lo, s11
	s_wait_dscnt 0x0
	s_barrier_signal -1
	s_barrier_wait -1
	ds_load_b32 v8, v11
	s_wait_dscnt 0x0
	v_add_f32_e32 v7, v7, v8
	ds_store_b32 v11, v7
	s_wait_dscnt 0x0
	s_barrier_signal -1
	s_barrier_wait -1
	s_and_saveexec_b32 s11, s1
	s_cbranch_execz .LBB4_11
; %bb.8:                                ;   in Loop: Header=BB4_3 Depth=1
	ds_load_b64 v[6:7], v10
	ds_load_b64 v[8:9], v14
	s_wait_dscnt 0x0
	v_cmp_eq_u64_e32 vcc_lo, v[6:7], v[8:9]
	v_mov_b32_e32 v6, 0
	s_and_saveexec_b32 s16, vcc_lo
; %bb.9:                                ;   in Loop: Header=BB4_3 Depth=1
	ds_load_b32 v6, v15
; %bb.10:                               ;   in Loop: Header=BB4_3 Depth=1
	s_or_b32 exec_lo, exec_lo, s16
.LBB4_11:                               ;   in Loop: Header=BB4_3 Depth=1
	s_delay_alu instid0(SALU_CYCLE_1)
	s_or_b32 exec_lo, exec_lo, s11
	s_wait_dscnt 0x0
	s_barrier_signal -1
	s_barrier_wait -1
	ds_load_b32 v7, v11
	s_wait_dscnt 0x0
	v_dual_add_f32 v8, v6, v7 :: v_dual_mov_b32 v6, 0
	v_mov_b32_e32 v7, 0
	ds_store_b32 v11, v8
	s_wait_dscnt 0x0
	s_barrier_signal -1
	s_barrier_wait -1
	s_and_saveexec_b32 s11, s2
	s_cbranch_execz .LBB4_15
; %bb.12:                               ;   in Loop: Header=BB4_3 Depth=1
	ds_load_b64 v[8:9], v10
	ds_load_b64 v[32:33], v16
	v_mov_b32_e32 v7, 0
	s_mov_b32 s16, exec_lo
	s_wait_dscnt 0x0
	v_cmpx_eq_u64_e64 v[8:9], v[32:33]
; %bb.13:                               ;   in Loop: Header=BB4_3 Depth=1
	ds_load_b32 v7, v17
; %bb.14:                               ;   in Loop: Header=BB4_3 Depth=1
	s_or_b32 exec_lo, exec_lo, s16
.LBB4_15:                               ;   in Loop: Header=BB4_3 Depth=1
	s_delay_alu instid0(SALU_CYCLE_1)
	s_or_b32 exec_lo, exec_lo, s11
	s_wait_dscnt 0x0
	s_barrier_signal -1
	s_barrier_wait -1
	ds_load_b32 v8, v11
	s_wait_dscnt 0x0
	v_add_f32_e32 v7, v7, v8
	ds_store_b32 v11, v7
	s_wait_dscnt 0x0
	s_barrier_signal -1
	s_barrier_wait -1
	s_and_saveexec_b32 s11, s3
	s_cbranch_execz .LBB4_19
; %bb.16:                               ;   in Loop: Header=BB4_3 Depth=1
	ds_load_b64 v[6:7], v10
	ds_load_b64 v[8:9], v18
	s_wait_dscnt 0x0
	v_cmp_eq_u64_e32 vcc_lo, v[6:7], v[8:9]
	v_mov_b32_e32 v6, 0
	s_and_saveexec_b32 s16, vcc_lo
; %bb.17:                               ;   in Loop: Header=BB4_3 Depth=1
	ds_load_b32 v6, v19
; %bb.18:                               ;   in Loop: Header=BB4_3 Depth=1
	s_or_b32 exec_lo, exec_lo, s16
.LBB4_19:                               ;   in Loop: Header=BB4_3 Depth=1
	s_delay_alu instid0(SALU_CYCLE_1)
	s_or_b32 exec_lo, exec_lo, s11
	s_wait_dscnt 0x0
	s_barrier_signal -1
	s_barrier_wait -1
	ds_load_b32 v7, v11
	s_wait_dscnt 0x0
	v_dual_add_f32 v8, v6, v7 :: v_dual_mov_b32 v6, 0
	v_mov_b32_e32 v7, 0
	ds_store_b32 v11, v8
	s_wait_dscnt 0x0
	s_barrier_signal -1
	s_barrier_wait -1
	s_and_saveexec_b32 s11, s4
	s_cbranch_execz .LBB4_23
; %bb.20:                               ;   in Loop: Header=BB4_3 Depth=1
	ds_load_b64 v[8:9], v10
	ds_load_b64 v[32:33], v20
	v_mov_b32_e32 v7, 0
	s_mov_b32 s16, exec_lo
	s_wait_dscnt 0x0
	v_cmpx_eq_u64_e64 v[8:9], v[32:33]
; %bb.21:                               ;   in Loop: Header=BB4_3 Depth=1
	ds_load_b32 v7, v21
; %bb.22:                               ;   in Loop: Header=BB4_3 Depth=1
	s_or_b32 exec_lo, exec_lo, s16
.LBB4_23:                               ;   in Loop: Header=BB4_3 Depth=1
	s_delay_alu instid0(SALU_CYCLE_1)
	s_or_b32 exec_lo, exec_lo, s11
	s_wait_dscnt 0x0
	s_barrier_signal -1
	s_barrier_wait -1
	ds_load_b32 v8, v11
	s_wait_dscnt 0x0
	v_add_f32_e32 v7, v7, v8
	ds_store_b32 v11, v7
	s_wait_dscnt 0x0
	s_barrier_signal -1
	s_barrier_wait -1
	s_and_saveexec_b32 s11, s5
	s_cbranch_execz .LBB4_27
; %bb.24:                               ;   in Loop: Header=BB4_3 Depth=1
	ds_load_b64 v[6:7], v10
	ds_load_b64 v[8:9], v22
	s_wait_dscnt 0x0
	v_cmp_eq_u64_e32 vcc_lo, v[6:7], v[8:9]
	v_mov_b32_e32 v6, 0
	s_and_saveexec_b32 s16, vcc_lo
; %bb.25:                               ;   in Loop: Header=BB4_3 Depth=1
	ds_load_b32 v6, v23
; %bb.26:                               ;   in Loop: Header=BB4_3 Depth=1
	s_or_b32 exec_lo, exec_lo, s16
.LBB4_27:                               ;   in Loop: Header=BB4_3 Depth=1
	s_delay_alu instid0(SALU_CYCLE_1)
	s_or_b32 exec_lo, exec_lo, s11
	s_wait_dscnt 0x0
	s_barrier_signal -1
	s_barrier_wait -1
	ds_load_b32 v7, v11
	s_wait_dscnt 0x0
	v_dual_add_f32 v8, v6, v7 :: v_dual_mov_b32 v6, 0
	v_mov_b32_e32 v7, 0
	ds_store_b32 v11, v8
	s_wait_dscnt 0x0
	s_barrier_signal -1
	s_barrier_wait -1
	s_and_saveexec_b32 s11, s6
	s_cbranch_execz .LBB4_31
; %bb.28:                               ;   in Loop: Header=BB4_3 Depth=1
	ds_load_b64 v[8:9], v10
	ds_load_b64 v[32:33], v24
	v_mov_b32_e32 v7, 0
	s_mov_b32 s16, exec_lo
	s_wait_dscnt 0x0
	v_cmpx_eq_u64_e64 v[8:9], v[32:33]
; %bb.29:                               ;   in Loop: Header=BB4_3 Depth=1
	ds_load_b32 v7, v25
; %bb.30:                               ;   in Loop: Header=BB4_3 Depth=1
	s_or_b32 exec_lo, exec_lo, s16
.LBB4_31:                               ;   in Loop: Header=BB4_3 Depth=1
	s_delay_alu instid0(SALU_CYCLE_1)
	s_or_b32 exec_lo, exec_lo, s11
	s_wait_dscnt 0x0
	s_barrier_signal -1
	s_barrier_wait -1
	ds_load_b32 v8, v11
	s_wait_dscnt 0x0
	v_add_f32_e32 v7, v7, v8
	ds_store_b32 v11, v7
	s_wait_dscnt 0x0
	s_barrier_signal -1
	s_barrier_wait -1
	s_and_saveexec_b32 s11, s7
	s_cbranch_execz .LBB4_35
; %bb.32:                               ;   in Loop: Header=BB4_3 Depth=1
	ds_load_b64 v[6:7], v10
	ds_load_b64 v[8:9], v26
	s_wait_dscnt 0x0
	v_cmp_eq_u64_e32 vcc_lo, v[6:7], v[8:9]
	v_mov_b32_e32 v6, 0
	s_and_saveexec_b32 s16, vcc_lo
; %bb.33:                               ;   in Loop: Header=BB4_3 Depth=1
	ds_load_b32 v6, v27
; %bb.34:                               ;   in Loop: Header=BB4_3 Depth=1
	s_or_b32 exec_lo, exec_lo, s16
.LBB4_35:                               ;   in Loop: Header=BB4_3 Depth=1
	s_delay_alu instid0(SALU_CYCLE_1)
	s_or_b32 exec_lo, exec_lo, s11
	s_wait_dscnt 0x0
	s_barrier_signal -1
	s_barrier_wait -1
	ds_load_b32 v7, v11
	s_wait_dscnt 0x0
	v_dual_add_f32 v8, v6, v7 :: v_dual_mov_b32 v6, 0
	v_mov_b32_e32 v7, 0
	ds_store_b32 v11, v8
	s_wait_dscnt 0x0
	s_barrier_signal -1
	s_barrier_wait -1
	s_and_saveexec_b32 s11, s8
	s_cbranch_execz .LBB4_39
; %bb.36:                               ;   in Loop: Header=BB4_3 Depth=1
	ds_load_b64 v[8:9], v10
	ds_load_b64 v[32:33], v28
	v_mov_b32_e32 v7, 0
	s_mov_b32 s16, exec_lo
	s_wait_dscnt 0x0
	v_cmpx_eq_u64_e64 v[8:9], v[32:33]
; %bb.37:                               ;   in Loop: Header=BB4_3 Depth=1
	ds_load_b32 v7, v29
; %bb.38:                               ;   in Loop: Header=BB4_3 Depth=1
	s_or_b32 exec_lo, exec_lo, s16
.LBB4_39:                               ;   in Loop: Header=BB4_3 Depth=1
	s_delay_alu instid0(SALU_CYCLE_1)
	s_or_b32 exec_lo, exec_lo, s11
	s_wait_dscnt 0x0
	s_barrier_signal -1
	s_barrier_wait -1
	ds_load_b32 v8, v11
	s_wait_dscnt 0x0
	v_add_f32_e32 v7, v7, v8
	ds_store_b32 v11, v7
	s_wait_dscnt 0x0
	s_barrier_signal -1
	s_barrier_wait -1
	s_and_saveexec_b32 s11, s9
	s_cbranch_execz .LBB4_43
; %bb.40:                               ;   in Loop: Header=BB4_3 Depth=1
	ds_load_b64 v[6:7], v10
	ds_load_b64 v[8:9], v30
	s_wait_dscnt 0x0
	v_cmp_eq_u64_e32 vcc_lo, v[6:7], v[8:9]
	v_mov_b32_e32 v6, 0
	s_and_saveexec_b32 s16, vcc_lo
; %bb.41:                               ;   in Loop: Header=BB4_3 Depth=1
	ds_load_b32 v6, v31
; %bb.42:                               ;   in Loop: Header=BB4_3 Depth=1
	s_or_b32 exec_lo, exec_lo, s16
.LBB4_43:                               ;   in Loop: Header=BB4_3 Depth=1
	s_delay_alu instid0(SALU_CYCLE_1)
	s_or_b32 exec_lo, exec_lo, s11
	s_wait_dscnt 0x0
	s_barrier_signal -1
	s_barrier_wait -1
	ds_load_b32 v7, v11
	v_mov_b64_e32 v[8:9], -1
	s_wait_dscnt 0x0
	v_add_f32_e32 v6, v6, v7
	ds_store_b32 v11, v6
	s_wait_dscnt 0x0
	s_barrier_signal -1
	s_barrier_wait -1
	ds_load_b64 v[6:7], v10
	s_and_saveexec_b32 s11, s10
; %bb.44:                               ;   in Loop: Header=BB4_3 Depth=1
	ds_load_b64 v[8:9], v10 offset:8
; %bb.45:                               ;   in Loop: Header=BB4_3 Depth=1
	s_or_b32 exec_lo, exec_lo, s11
	s_wait_dscnt 0x0
	v_cmp_ne_u64_e32 vcc_lo, v[6:7], v[8:9]
	v_cmp_lt_i64_e64 s11, -1, v[6:7]
	s_and_b32 s16, s11, vcc_lo
	s_delay_alu instid0(SALU_CYCLE_1)
	s_and_saveexec_b32 s11, s16
	s_cbranch_execz .LBB4_2
; %bb.46:                               ;   in Loop: Header=BB4_3 Depth=1
	s_and_b32 vcc_lo, exec_lo, s24
	s_mov_b32 s16, -1
	s_cbranch_vccz .LBB4_48
; %bb.47:                               ;   in Loop: Header=BB4_3 Depth=1
	v_mul_u64_e32 v[8:9], s[18:19], v[6:7]
	ds_load_b32 v33, v11
	s_mov_b32 s16, 0
	v_lshl_add_u64 v[8:9], v[8:9], 2, s[12:13]
	global_load_b32 v32, v[8:9], off
	s_wait_loadcnt_dscnt 0x0
	v_add_f32_e32 v32, v32, v33
	global_store_b32 v[8:9], v32, off
.LBB4_48:                               ;   in Loop: Header=BB4_3 Depth=1
	s_and_not1_b32 vcc_lo, exec_lo, s16
	s_cbranch_vccnz .LBB4_2
; %bb.49:                               ;   in Loop: Header=BB4_3 Depth=1
	v_lshl_add_u64 v[6:7], v[6:7], 2, s[14:15]
	s_wait_xcnt 0x0
	ds_load_b32 v9, v11
	global_load_b32 v8, v[6:7], off
	s_wait_loadcnt_dscnt 0x0
	v_add_f32_e32 v8, v8, v9
	global_store_b32 v[6:7], v8, off
	s_branch .LBB4_2
.LBB4_50:
	s_endpgm
	.section	.rodata,"a",@progbits
	.p2align	6, 0x0
	.amdhsa_kernel _ZN9rocsparseL28csrmmnn_general_block_reduceILj1024EliffEEvT0_PKT1_PKT3_PT2_l16rocsparse_order_
		.amdhsa_group_segment_fixed_size 12288
		.amdhsa_private_segment_fixed_size 0
		.amdhsa_kernarg_size 44
		.amdhsa_user_sgpr_count 2
		.amdhsa_user_sgpr_dispatch_ptr 0
		.amdhsa_user_sgpr_queue_ptr 0
		.amdhsa_user_sgpr_kernarg_segment_ptr 1
		.amdhsa_user_sgpr_dispatch_id 0
		.amdhsa_user_sgpr_kernarg_preload_length 0
		.amdhsa_user_sgpr_kernarg_preload_offset 0
		.amdhsa_user_sgpr_private_segment_size 0
		.amdhsa_wavefront_size32 1
		.amdhsa_uses_dynamic_stack 0
		.amdhsa_enable_private_segment 0
		.amdhsa_system_sgpr_workgroup_id_x 1
		.amdhsa_system_sgpr_workgroup_id_y 0
		.amdhsa_system_sgpr_workgroup_id_z 0
		.amdhsa_system_sgpr_workgroup_info 0
		.amdhsa_system_vgpr_workitem_id 0
		.amdhsa_next_free_vgpr 36
		.amdhsa_next_free_sgpr 28
		.amdhsa_named_barrier_count 0
		.amdhsa_reserve_vcc 1
		.amdhsa_float_round_mode_32 0
		.amdhsa_float_round_mode_16_64 0
		.amdhsa_float_denorm_mode_32 3
		.amdhsa_float_denorm_mode_16_64 3
		.amdhsa_fp16_overflow 0
		.amdhsa_memory_ordered 1
		.amdhsa_forward_progress 1
		.amdhsa_inst_pref_size 15
		.amdhsa_round_robin_scheduling 0
		.amdhsa_exception_fp_ieee_invalid_op 0
		.amdhsa_exception_fp_denorm_src 0
		.amdhsa_exception_fp_ieee_div_zero 0
		.amdhsa_exception_fp_ieee_overflow 0
		.amdhsa_exception_fp_ieee_underflow 0
		.amdhsa_exception_fp_ieee_inexact 0
		.amdhsa_exception_int_div_zero 0
	.end_amdhsa_kernel
	.section	.text._ZN9rocsparseL28csrmmnn_general_block_reduceILj1024EliffEEvT0_PKT1_PKT3_PT2_l16rocsparse_order_,"axG",@progbits,_ZN9rocsparseL28csrmmnn_general_block_reduceILj1024EliffEEvT0_PKT1_PKT3_PT2_l16rocsparse_order_,comdat
.Lfunc_end4:
	.size	_ZN9rocsparseL28csrmmnn_general_block_reduceILj1024EliffEEvT0_PKT1_PKT3_PT2_l16rocsparse_order_, .Lfunc_end4-_ZN9rocsparseL28csrmmnn_general_block_reduceILj1024EliffEEvT0_PKT1_PKT3_PT2_l16rocsparse_order_
                                        ; -- End function
	.set _ZN9rocsparseL28csrmmnn_general_block_reduceILj1024EliffEEvT0_PKT1_PKT3_PT2_l16rocsparse_order_.num_vgpr, 36
	.set _ZN9rocsparseL28csrmmnn_general_block_reduceILj1024EliffEEvT0_PKT1_PKT3_PT2_l16rocsparse_order_.num_agpr, 0
	.set _ZN9rocsparseL28csrmmnn_general_block_reduceILj1024EliffEEvT0_PKT1_PKT3_PT2_l16rocsparse_order_.numbered_sgpr, 28
	.set _ZN9rocsparseL28csrmmnn_general_block_reduceILj1024EliffEEvT0_PKT1_PKT3_PT2_l16rocsparse_order_.num_named_barrier, 0
	.set _ZN9rocsparseL28csrmmnn_general_block_reduceILj1024EliffEEvT0_PKT1_PKT3_PT2_l16rocsparse_order_.private_seg_size, 0
	.set _ZN9rocsparseL28csrmmnn_general_block_reduceILj1024EliffEEvT0_PKT1_PKT3_PT2_l16rocsparse_order_.uses_vcc, 1
	.set _ZN9rocsparseL28csrmmnn_general_block_reduceILj1024EliffEEvT0_PKT1_PKT3_PT2_l16rocsparse_order_.uses_flat_scratch, 0
	.set _ZN9rocsparseL28csrmmnn_general_block_reduceILj1024EliffEEvT0_PKT1_PKT3_PT2_l16rocsparse_order_.has_dyn_sized_stack, 0
	.set _ZN9rocsparseL28csrmmnn_general_block_reduceILj1024EliffEEvT0_PKT1_PKT3_PT2_l16rocsparse_order_.has_recursion, 0
	.set _ZN9rocsparseL28csrmmnn_general_block_reduceILj1024EliffEEvT0_PKT1_PKT3_PT2_l16rocsparse_order_.has_indirect_call, 0
	.section	.AMDGPU.csdata,"",@progbits
; Kernel info:
; codeLenInByte = 1920
; TotalNumSgprs: 30
; NumVgprs: 36
; ScratchSize: 0
; MemoryBound: 0
; FloatMode: 240
; IeeeMode: 1
; LDSByteSize: 12288 bytes/workgroup (compile time only)
; SGPRBlocks: 0
; VGPRBlocks: 2
; NumSGPRsForWavesPerEU: 30
; NumVGPRsForWavesPerEU: 36
; NamedBarCnt: 0
; Occupancy: 16
; WaveLimiterHint : 0
; COMPUTE_PGM_RSRC2:SCRATCH_EN: 0
; COMPUTE_PGM_RSRC2:USER_SGPR: 2
; COMPUTE_PGM_RSRC2:TRAP_HANDLER: 0
; COMPUTE_PGM_RSRC2:TGID_X_EN: 1
; COMPUTE_PGM_RSRC2:TGID_Y_EN: 0
; COMPUTE_PGM_RSRC2:TGID_Z_EN: 0
; COMPUTE_PGM_RSRC2:TIDIG_COMP_CNT: 0
	.section	.text._ZN9rocsparseL28csrmmnn_general_block_reduceILj1024EllffEEvT0_PKT1_PKT3_PT2_l16rocsparse_order_,"axG",@progbits,_ZN9rocsparseL28csrmmnn_general_block_reduceILj1024EllffEEvT0_PKT1_PKT3_PT2_l16rocsparse_order_,comdat
	.globl	_ZN9rocsparseL28csrmmnn_general_block_reduceILj1024EllffEEvT0_PKT1_PKT3_PT2_l16rocsparse_order_ ; -- Begin function _ZN9rocsparseL28csrmmnn_general_block_reduceILj1024EllffEEvT0_PKT1_PKT3_PT2_l16rocsparse_order_
	.p2align	8
	.type	_ZN9rocsparseL28csrmmnn_general_block_reduceILj1024EllffEEvT0_PKT1_PKT3_PT2_l16rocsparse_order_,@function
_ZN9rocsparseL28csrmmnn_general_block_reduceILj1024EllffEEvT0_PKT1_PKT3_PT2_l16rocsparse_order_: ; @_ZN9rocsparseL28csrmmnn_general_block_reduceILj1024EllffEEvT0_PKT1_PKT3_PT2_l16rocsparse_order_
; %bb.0:
	s_load_b64 s[20:21], s[0:1], 0x0
	v_mov_b64_e32 v[4:5], -1
	v_dual_mov_b32 v1, 0 :: v_dual_lshlrev_b32 v10, 3, v0
	v_lshlrev_b32_e32 v2, 2, v0
	s_mov_b32 s2, exec_lo
	ds_store_b64 v10, v[4:5]
	ds_store_b32 v2, v1 offset:8192
	s_wait_dscnt 0x0
	s_barrier_signal -1
	s_barrier_wait -1
	s_wait_kmcnt 0x0
	v_cmpx_gt_i64_e64 s[20:21], v[0:1]
	s_cbranch_execz .LBB5_50
; %bb.1:
	s_clause 0x1
	s_load_b32 s10, s[0:1], 0x28
	s_load_b256 s[12:19], s[0:1], 0x8
	s_bfe_u32 s2, ttmp6, 0x4000c
	s_and_b32 s3, ttmp6, 15
	s_add_co_i32 s2, s2, 1
	s_getreg_b32 s4, hwreg(HW_REG_IB_STS2, 6, 4)
	s_mul_i32 s2, ttmp9, s2
	v_or_b32_e32 v11, 0x2000, v2
	s_add_co_i32 s3, s3, s2
	s_cmp_eq_u32 s4, 0
	s_mov_b32 s23, 0
	s_cselect_b32 s22, ttmp9, s3
	v_dual_add_nc_u32 v17, -16, v11 :: v_dual_lshlrev_b32 v2, 2, v0
	s_lshl_b64 s[26:27], s[22:23], 2
	v_dual_mov_b32 v3, v1 :: v_dual_add_nc_u32 v20, 0xffffff80, v10
	v_dual_mov_b32 v5, v1 :: v_dual_add_nc_u32 v22, 0xffffff00, v10
	v_lshlrev_b32_e32 v4, 3, v0
	s_wait_kmcnt 0x0
	s_cmp_lg_u32 s10, 1
	s_mul_u64 s[10:11], s[20:21], s[22:23]
	s_cselect_b32 s24, -1, 0
	s_lshl_b64 s[10:11], s[10:11], 2
	v_add_nc_u64_e32 v[4:5], s[12:13], v[4:5]
	s_add_nc_u64 s[10:11], s[14:15], s[10:11]
	s_mul_u64 s[12:13], s[18:19], s[22:23]
	v_add_nc_u64_e32 v[2:3], s[10:11], v[2:3]
	v_cmp_ne_u32_e64 s0, 0, v0
	v_dual_add_nc_u32 v12, -8, v10 :: v_dual_add_nc_u32 v13, -4, v11
	v_cmp_lt_u32_e64 s1, 1, v0
	v_dual_add_nc_u32 v14, -16, v10 :: v_dual_add_nc_u32 v15, -8, v11
	v_cmp_lt_u32_e64 s2, 3, v0
	v_subrev_nc_u32_e32 v16, 32, v10
	v_cmp_lt_u32_e64 s3, 7, v0
	v_subrev_nc_u32_e32 v18, 64, v10
	v_subrev_nc_u32_e32 v19, 32, v11
	v_cmp_lt_u32_e64 s4, 15, v0
	v_subrev_nc_u32_e32 v21, 64, v11
	v_cmp_lt_u32_e64 s5, 31, v0
	v_add_nc_u32_e32 v23, 0xffffff80, v11
	v_cmp_lt_u32_e64 s6, 63, v0
	v_add_nc_u32_e32 v24, 0xfffffe00, v10
	v_add_nc_u32_e32 v25, 0xffffff00, v11
	v_cmp_lt_u32_e64 s7, 0x7f, v0
	v_add_nc_u32_e32 v26, 0xfffffc00, v10
	;; [unrolled: 3-line block ×4, first 2 shown]
	v_add_nc_u32_e32 v31, 0xfffff800, v11
	v_cmp_ne_u32_e64 s10, 0x3ff, v0
	s_lshl_b64 s[14:15], s[12:13], 2
	s_add_nc_u64 s[12:13], s[16:17], s[26:27]
	s_add_nc_u64 s[14:15], s[16:17], s[14:15]
	s_branch .LBB5_3
.LBB5_2:                                ;   in Loop: Header=BB5_3 Depth=1
	s_wait_xcnt 0x0
	s_or_b32 exec_lo, exec_lo, s11
	v_add_nc_u64_e32 v[0:1], 0x400, v[0:1]
	v_add_nc_u64_e32 v[2:3], 0x1000, v[2:3]
	;; [unrolled: 1-line block ×3, first 2 shown]
	s_wait_storecnt 0x0
	s_barrier_signal -1
	s_barrier_wait -1
	s_delay_alu instid0(VALU_DEP_3) | instskip(SKIP_1) | instid1(SALU_CYCLE_1)
	v_cmp_le_i64_e32 vcc_lo, s[20:21], v[0:1]
	s_or_b32 s23, vcc_lo, s23
	s_and_not1_b32 exec_lo, exec_lo, s23
	s_cbranch_execz .LBB5_50
.LBB5_3:                                ; =>This Inner Loop Header: Depth=1
	global_load_b64 v[8:9], v[4:5], off
	global_load_b32 v32, v[2:3], off
	v_dual_mov_b32 v6, 0 :: v_dual_mov_b32 v7, 0
	s_wait_loadcnt 0x1
	ds_store_b64 v10, v[8:9]
	s_wait_loadcnt 0x0
	ds_store_b32 v11, v32
	s_wait_dscnt 0x0
	s_barrier_signal -1
	s_barrier_wait -1
	s_and_saveexec_b32 s11, s0
	s_cbranch_execz .LBB5_7
; %bb.4:                                ;   in Loop: Header=BB5_3 Depth=1
	ds_load_2addr_b64 v[32:35], v12 offset1:1
	v_mov_b32_e32 v7, 0
	s_mov_b32 s16, exec_lo
	s_wait_dscnt 0x0
	v_cmpx_eq_u64_e64 v[34:35], v[32:33]
; %bb.5:                                ;   in Loop: Header=BB5_3 Depth=1
	ds_load_b32 v7, v13
; %bb.6:                                ;   in Loop: Header=BB5_3 Depth=1
	s_or_b32 exec_lo, exec_lo, s16
.LBB5_7:                                ;   in Loop: Header=BB5_3 Depth=1
	s_delay_alu instid0(SALU_CYCLE_1)
	s_or_b32 exec_lo, exec_lo, s11
	s_wait_dscnt 0x0
	s_barrier_signal -1
	s_barrier_wait -1
	ds_load_b32 v8, v11
	s_wait_dscnt 0x0
	v_add_f32_e32 v7, v7, v8
	ds_store_b32 v11, v7
	s_wait_dscnt 0x0
	s_barrier_signal -1
	s_barrier_wait -1
	s_and_saveexec_b32 s11, s1
	s_cbranch_execz .LBB5_11
; %bb.8:                                ;   in Loop: Header=BB5_3 Depth=1
	ds_load_b64 v[6:7], v10
	ds_load_b64 v[8:9], v14
	s_wait_dscnt 0x0
	v_cmp_eq_u64_e32 vcc_lo, v[6:7], v[8:9]
	v_mov_b32_e32 v6, 0
	s_and_saveexec_b32 s16, vcc_lo
; %bb.9:                                ;   in Loop: Header=BB5_3 Depth=1
	ds_load_b32 v6, v15
; %bb.10:                               ;   in Loop: Header=BB5_3 Depth=1
	s_or_b32 exec_lo, exec_lo, s16
.LBB5_11:                               ;   in Loop: Header=BB5_3 Depth=1
	s_delay_alu instid0(SALU_CYCLE_1)
	s_or_b32 exec_lo, exec_lo, s11
	s_wait_dscnt 0x0
	s_barrier_signal -1
	s_barrier_wait -1
	ds_load_b32 v7, v11
	s_wait_dscnt 0x0
	v_dual_add_f32 v8, v6, v7 :: v_dual_mov_b32 v6, 0
	v_mov_b32_e32 v7, 0
	ds_store_b32 v11, v8
	s_wait_dscnt 0x0
	s_barrier_signal -1
	s_barrier_wait -1
	s_and_saveexec_b32 s11, s2
	s_cbranch_execz .LBB5_15
; %bb.12:                               ;   in Loop: Header=BB5_3 Depth=1
	ds_load_b64 v[8:9], v10
	ds_load_b64 v[32:33], v16
	v_mov_b32_e32 v7, 0
	s_mov_b32 s16, exec_lo
	s_wait_dscnt 0x0
	v_cmpx_eq_u64_e64 v[8:9], v[32:33]
; %bb.13:                               ;   in Loop: Header=BB5_3 Depth=1
	ds_load_b32 v7, v17
; %bb.14:                               ;   in Loop: Header=BB5_3 Depth=1
	s_or_b32 exec_lo, exec_lo, s16
.LBB5_15:                               ;   in Loop: Header=BB5_3 Depth=1
	s_delay_alu instid0(SALU_CYCLE_1)
	s_or_b32 exec_lo, exec_lo, s11
	s_wait_dscnt 0x0
	s_barrier_signal -1
	s_barrier_wait -1
	ds_load_b32 v8, v11
	s_wait_dscnt 0x0
	v_add_f32_e32 v7, v7, v8
	ds_store_b32 v11, v7
	s_wait_dscnt 0x0
	s_barrier_signal -1
	s_barrier_wait -1
	s_and_saveexec_b32 s11, s3
	s_cbranch_execz .LBB5_19
; %bb.16:                               ;   in Loop: Header=BB5_3 Depth=1
	ds_load_b64 v[6:7], v10
	ds_load_b64 v[8:9], v18
	s_wait_dscnt 0x0
	v_cmp_eq_u64_e32 vcc_lo, v[6:7], v[8:9]
	v_mov_b32_e32 v6, 0
	s_and_saveexec_b32 s16, vcc_lo
; %bb.17:                               ;   in Loop: Header=BB5_3 Depth=1
	ds_load_b32 v6, v19
; %bb.18:                               ;   in Loop: Header=BB5_3 Depth=1
	s_or_b32 exec_lo, exec_lo, s16
.LBB5_19:                               ;   in Loop: Header=BB5_3 Depth=1
	s_delay_alu instid0(SALU_CYCLE_1)
	s_or_b32 exec_lo, exec_lo, s11
	s_wait_dscnt 0x0
	s_barrier_signal -1
	s_barrier_wait -1
	ds_load_b32 v7, v11
	s_wait_dscnt 0x0
	v_dual_add_f32 v8, v6, v7 :: v_dual_mov_b32 v6, 0
	v_mov_b32_e32 v7, 0
	ds_store_b32 v11, v8
	s_wait_dscnt 0x0
	s_barrier_signal -1
	s_barrier_wait -1
	s_and_saveexec_b32 s11, s4
	s_cbranch_execz .LBB5_23
; %bb.20:                               ;   in Loop: Header=BB5_3 Depth=1
	ds_load_b64 v[8:9], v10
	ds_load_b64 v[32:33], v20
	v_mov_b32_e32 v7, 0
	s_mov_b32 s16, exec_lo
	s_wait_dscnt 0x0
	v_cmpx_eq_u64_e64 v[8:9], v[32:33]
; %bb.21:                               ;   in Loop: Header=BB5_3 Depth=1
	ds_load_b32 v7, v21
; %bb.22:                               ;   in Loop: Header=BB5_3 Depth=1
	s_or_b32 exec_lo, exec_lo, s16
.LBB5_23:                               ;   in Loop: Header=BB5_3 Depth=1
	s_delay_alu instid0(SALU_CYCLE_1)
	s_or_b32 exec_lo, exec_lo, s11
	s_wait_dscnt 0x0
	s_barrier_signal -1
	s_barrier_wait -1
	ds_load_b32 v8, v11
	s_wait_dscnt 0x0
	v_add_f32_e32 v7, v7, v8
	ds_store_b32 v11, v7
	s_wait_dscnt 0x0
	s_barrier_signal -1
	s_barrier_wait -1
	s_and_saveexec_b32 s11, s5
	s_cbranch_execz .LBB5_27
; %bb.24:                               ;   in Loop: Header=BB5_3 Depth=1
	ds_load_b64 v[6:7], v10
	ds_load_b64 v[8:9], v22
	s_wait_dscnt 0x0
	v_cmp_eq_u64_e32 vcc_lo, v[6:7], v[8:9]
	v_mov_b32_e32 v6, 0
	s_and_saveexec_b32 s16, vcc_lo
; %bb.25:                               ;   in Loop: Header=BB5_3 Depth=1
	ds_load_b32 v6, v23
; %bb.26:                               ;   in Loop: Header=BB5_3 Depth=1
	s_or_b32 exec_lo, exec_lo, s16
.LBB5_27:                               ;   in Loop: Header=BB5_3 Depth=1
	;; [unrolled: 53-line block ×4, first 2 shown]
	s_delay_alu instid0(SALU_CYCLE_1)
	s_or_b32 exec_lo, exec_lo, s11
	s_wait_dscnt 0x0
	s_barrier_signal -1
	s_barrier_wait -1
	ds_load_b32 v7, v11
	v_mov_b64_e32 v[8:9], -1
	s_wait_dscnt 0x0
	v_add_f32_e32 v6, v6, v7
	ds_store_b32 v11, v6
	s_wait_dscnt 0x0
	s_barrier_signal -1
	s_barrier_wait -1
	ds_load_b64 v[6:7], v10
	s_and_saveexec_b32 s11, s10
; %bb.44:                               ;   in Loop: Header=BB5_3 Depth=1
	ds_load_b64 v[8:9], v10 offset:8
; %bb.45:                               ;   in Loop: Header=BB5_3 Depth=1
	s_or_b32 exec_lo, exec_lo, s11
	s_wait_dscnt 0x0
	v_cmp_ne_u64_e32 vcc_lo, v[6:7], v[8:9]
	v_cmp_lt_i64_e64 s11, -1, v[6:7]
	s_and_b32 s16, s11, vcc_lo
	s_delay_alu instid0(SALU_CYCLE_1)
	s_and_saveexec_b32 s11, s16
	s_cbranch_execz .LBB5_2
; %bb.46:                               ;   in Loop: Header=BB5_3 Depth=1
	s_and_b32 vcc_lo, exec_lo, s24
	s_mov_b32 s16, -1
	s_cbranch_vccz .LBB5_48
; %bb.47:                               ;   in Loop: Header=BB5_3 Depth=1
	v_mul_u64_e32 v[8:9], s[18:19], v[6:7]
	ds_load_b32 v33, v11
	s_mov_b32 s16, 0
	v_lshl_add_u64 v[8:9], v[8:9], 2, s[12:13]
	global_load_b32 v32, v[8:9], off
	s_wait_loadcnt_dscnt 0x0
	v_add_f32_e32 v32, v32, v33
	global_store_b32 v[8:9], v32, off
.LBB5_48:                               ;   in Loop: Header=BB5_3 Depth=1
	s_and_not1_b32 vcc_lo, exec_lo, s16
	s_cbranch_vccnz .LBB5_2
; %bb.49:                               ;   in Loop: Header=BB5_3 Depth=1
	v_lshl_add_u64 v[6:7], v[6:7], 2, s[14:15]
	s_wait_xcnt 0x0
	ds_load_b32 v9, v11
	global_load_b32 v8, v[6:7], off
	s_wait_loadcnt_dscnt 0x0
	v_add_f32_e32 v8, v8, v9
	global_store_b32 v[6:7], v8, off
	s_branch .LBB5_2
.LBB5_50:
	s_endpgm
	.section	.rodata,"a",@progbits
	.p2align	6, 0x0
	.amdhsa_kernel _ZN9rocsparseL28csrmmnn_general_block_reduceILj1024EllffEEvT0_PKT1_PKT3_PT2_l16rocsparse_order_
		.amdhsa_group_segment_fixed_size 12288
		.amdhsa_private_segment_fixed_size 0
		.amdhsa_kernarg_size 44
		.amdhsa_user_sgpr_count 2
		.amdhsa_user_sgpr_dispatch_ptr 0
		.amdhsa_user_sgpr_queue_ptr 0
		.amdhsa_user_sgpr_kernarg_segment_ptr 1
		.amdhsa_user_sgpr_dispatch_id 0
		.amdhsa_user_sgpr_kernarg_preload_length 0
		.amdhsa_user_sgpr_kernarg_preload_offset 0
		.amdhsa_user_sgpr_private_segment_size 0
		.amdhsa_wavefront_size32 1
		.amdhsa_uses_dynamic_stack 0
		.amdhsa_enable_private_segment 0
		.amdhsa_system_sgpr_workgroup_id_x 1
		.amdhsa_system_sgpr_workgroup_id_y 0
		.amdhsa_system_sgpr_workgroup_id_z 0
		.amdhsa_system_sgpr_workgroup_info 0
		.amdhsa_system_vgpr_workitem_id 0
		.amdhsa_next_free_vgpr 36
		.amdhsa_next_free_sgpr 28
		.amdhsa_named_barrier_count 0
		.amdhsa_reserve_vcc 1
		.amdhsa_float_round_mode_32 0
		.amdhsa_float_round_mode_16_64 0
		.amdhsa_float_denorm_mode_32 3
		.amdhsa_float_denorm_mode_16_64 3
		.amdhsa_fp16_overflow 0
		.amdhsa_memory_ordered 1
		.amdhsa_forward_progress 1
		.amdhsa_inst_pref_size 15
		.amdhsa_round_robin_scheduling 0
		.amdhsa_exception_fp_ieee_invalid_op 0
		.amdhsa_exception_fp_denorm_src 0
		.amdhsa_exception_fp_ieee_div_zero 0
		.amdhsa_exception_fp_ieee_overflow 0
		.amdhsa_exception_fp_ieee_underflow 0
		.amdhsa_exception_fp_ieee_inexact 0
		.amdhsa_exception_int_div_zero 0
	.end_amdhsa_kernel
	.section	.text._ZN9rocsparseL28csrmmnn_general_block_reduceILj1024EllffEEvT0_PKT1_PKT3_PT2_l16rocsparse_order_,"axG",@progbits,_ZN9rocsparseL28csrmmnn_general_block_reduceILj1024EllffEEvT0_PKT1_PKT3_PT2_l16rocsparse_order_,comdat
.Lfunc_end5:
	.size	_ZN9rocsparseL28csrmmnn_general_block_reduceILj1024EllffEEvT0_PKT1_PKT3_PT2_l16rocsparse_order_, .Lfunc_end5-_ZN9rocsparseL28csrmmnn_general_block_reduceILj1024EllffEEvT0_PKT1_PKT3_PT2_l16rocsparse_order_
                                        ; -- End function
	.set _ZN9rocsparseL28csrmmnn_general_block_reduceILj1024EllffEEvT0_PKT1_PKT3_PT2_l16rocsparse_order_.num_vgpr, 36
	.set _ZN9rocsparseL28csrmmnn_general_block_reduceILj1024EllffEEvT0_PKT1_PKT3_PT2_l16rocsparse_order_.num_agpr, 0
	.set _ZN9rocsparseL28csrmmnn_general_block_reduceILj1024EllffEEvT0_PKT1_PKT3_PT2_l16rocsparse_order_.numbered_sgpr, 28
	.set _ZN9rocsparseL28csrmmnn_general_block_reduceILj1024EllffEEvT0_PKT1_PKT3_PT2_l16rocsparse_order_.num_named_barrier, 0
	.set _ZN9rocsparseL28csrmmnn_general_block_reduceILj1024EllffEEvT0_PKT1_PKT3_PT2_l16rocsparse_order_.private_seg_size, 0
	.set _ZN9rocsparseL28csrmmnn_general_block_reduceILj1024EllffEEvT0_PKT1_PKT3_PT2_l16rocsparse_order_.uses_vcc, 1
	.set _ZN9rocsparseL28csrmmnn_general_block_reduceILj1024EllffEEvT0_PKT1_PKT3_PT2_l16rocsparse_order_.uses_flat_scratch, 0
	.set _ZN9rocsparseL28csrmmnn_general_block_reduceILj1024EllffEEvT0_PKT1_PKT3_PT2_l16rocsparse_order_.has_dyn_sized_stack, 0
	.set _ZN9rocsparseL28csrmmnn_general_block_reduceILj1024EllffEEvT0_PKT1_PKT3_PT2_l16rocsparse_order_.has_recursion, 0
	.set _ZN9rocsparseL28csrmmnn_general_block_reduceILj1024EllffEEvT0_PKT1_PKT3_PT2_l16rocsparse_order_.has_indirect_call, 0
	.section	.AMDGPU.csdata,"",@progbits
; Kernel info:
; codeLenInByte = 1920
; TotalNumSgprs: 30
; NumVgprs: 36
; ScratchSize: 0
; MemoryBound: 0
; FloatMode: 240
; IeeeMode: 1
; LDSByteSize: 12288 bytes/workgroup (compile time only)
; SGPRBlocks: 0
; VGPRBlocks: 2
; NumSGPRsForWavesPerEU: 30
; NumVGPRsForWavesPerEU: 36
; NamedBarCnt: 0
; Occupancy: 16
; WaveLimiterHint : 0
; COMPUTE_PGM_RSRC2:SCRATCH_EN: 0
; COMPUTE_PGM_RSRC2:USER_SGPR: 2
; COMPUTE_PGM_RSRC2:TRAP_HANDLER: 0
; COMPUTE_PGM_RSRC2:TGID_X_EN: 1
; COMPUTE_PGM_RSRC2:TGID_Y_EN: 0
; COMPUTE_PGM_RSRC2:TGID_Z_EN: 0
; COMPUTE_PGM_RSRC2:TIDIG_COMP_CNT: 0
	.section	.text._ZN9rocsparseL28csrmmnn_general_block_reduceILj1024EiiddEEvT0_PKT1_PKT3_PT2_l16rocsparse_order_,"axG",@progbits,_ZN9rocsparseL28csrmmnn_general_block_reduceILj1024EiiddEEvT0_PKT1_PKT3_PT2_l16rocsparse_order_,comdat
	.globl	_ZN9rocsparseL28csrmmnn_general_block_reduceILj1024EiiddEEvT0_PKT1_PKT3_PT2_l16rocsparse_order_ ; -- Begin function _ZN9rocsparseL28csrmmnn_general_block_reduceILj1024EiiddEEvT0_PKT1_PKT3_PT2_l16rocsparse_order_
	.p2align	8
	.type	_ZN9rocsparseL28csrmmnn_general_block_reduceILj1024EiiddEEvT0_PKT1_PKT3_PT2_l16rocsparse_order_,@function
_ZN9rocsparseL28csrmmnn_general_block_reduceILj1024EiiddEEvT0_PKT1_PKT3_PT2_l16rocsparse_order_: ; @_ZN9rocsparseL28csrmmnn_general_block_reduceILj1024EiiddEEvT0_PKT1_PKT3_PT2_l16rocsparse_order_
; %bb.0:
	s_load_b32 s22, s[0:1], 0x0
	v_mov_b64_e32 v[4:5], 0
	v_dual_mov_b32 v3, -1 :: v_dual_lshlrev_b32 v2, 2, v0
	v_lshlrev_b32_e32 v1, 3, v0
	s_mov_b32 s2, exec_lo
	ds_store_b32 v2, v3 offset:8192
	ds_store_b64 v1, v[4:5]
	s_wait_dscnt 0x0
	s_barrier_signal -1
	s_barrier_wait -1
	s_wait_kmcnt 0x0
	v_cmpx_gt_i32_e64 s22, v0
	s_cbranch_execz .LBB6_50
; %bb.1:
	s_clause 0x1
	s_load_b32 s10, s[0:1], 0x28
	s_load_b256 s[12:19], s[0:1], 0x8
	s_bfe_u32 s2, ttmp6, 0x4000c
	s_and_b32 s3, ttmp6, 15
	s_add_co_i32 s2, s2, 1
	s_getreg_b32 s4, hwreg(HW_REG_IB_STS2, 6, 4)
	s_mul_i32 s2, ttmp9, s2
	v_or_b32_e32 v8, 0x2000, v2
	s_add_co_i32 s3, s3, s2
	s_cmp_eq_u32 s4, 0
	s_wait_xcnt 0x0
	v_cmp_ne_u32_e64 s0, 0, v0
	s_cselect_b32 s20, ttmp9, s3
	v_dual_add_nc_u32 v9, -4, v8 :: v_dual_add_nc_u32 v10, -8, v1
	s_mul_i32 s24, s22, s20
	v_cmp_lt_u32_e64 s1, 1, v0
	v_dual_add_nc_u32 v11, -8, v8 :: v_dual_add_nc_u32 v12, -16, v1
	v_cmp_lt_u32_e64 s2, 3, v0
	v_dual_add_nc_u32 v13, -16, v8 :: v_dual_mov_b32 v3, 0
	s_wait_kmcnt 0x0
	s_cmp_lg_u32 s10, 1
	v_subrev_nc_u32_e32 v14, 32, v1
	s_cselect_b32 s25, -1, 0
	s_ashr_i32 s21, s20, 31
	v_cmp_lt_u32_e64 s3, 7, v0
	s_lshl_b64 s[26:27], s[20:21], 3
	s_mul_u64 s[20:21], s[18:19], s[20:21]
	v_subrev_nc_u32_e32 v15, 32, v8
	v_subrev_nc_u32_e32 v16, 64, v1
	v_cmp_lt_u32_e64 s4, 15, v0
	v_subrev_nc_u32_e32 v17, 64, v8
	v_add_nc_u32_e32 v18, 0xffffff80, v1
	v_cmp_lt_u32_e64 s5, 31, v0
	v_add_nc_u32_e32 v19, 0xffffff80, v8
	v_add_nc_u32_e32 v20, 0xffffff00, v1
	v_cmp_lt_u32_e64 s6, 63, v0
	v_add_nc_u32_e32 v21, 0xffffff00, v8
	;; [unrolled: 3-line block ×5, first 2 shown]
	v_add_nc_u32_e32 v28, 0xfffff000, v1
	v_cmp_ne_u32_e64 s10, 0x3ff, v0
	s_lshl_b64 s[28:29], s[20:21], 3
	s_mov_b32 s23, 0
	s_add_nc_u64 s[20:21], s[16:17], s[26:27]
	s_add_nc_u64 s[16:17], s[16:17], s[28:29]
	s_branch .LBB6_3
.LBB6_2:                                ;   in Loop: Header=BB6_3 Depth=1
	s_wait_xcnt 0x0
	s_or_b32 exec_lo, exec_lo, s11
	v_add_nc_u32_e32 v0, 0x400, v0
	s_wait_storecnt 0x0
	s_barrier_signal -1
	s_barrier_wait -1
	s_delay_alu instid0(VALU_DEP_1) | instskip(SKIP_1) | instid1(SALU_CYCLE_1)
	v_cmp_le_i32_e32 vcc_lo, s22, v0
	s_or_b32 s23, vcc_lo, s23
	s_and_not1_b32 exec_lo, exec_lo, s23
	s_cbranch_execz .LBB6_50
.LBB6_3:                                ; =>This Inner Loop Header: Depth=1
	v_add_nc_u32_e32 v2, s24, v0
	v_mov_b64_e32 v[4:5], 0
	v_mov_b64_e32 v[6:7], 0
	global_load_b32 v29, v0, s[12:13] scale_offset
	global_load_b64 v[30:31], v2, s[14:15] scale_offset
	s_wait_loadcnt 0x1
	ds_store_b32 v8, v29
	s_wait_loadcnt 0x0
	ds_store_b64 v1, v[30:31]
	s_wait_dscnt 0x0
	s_barrier_signal -1
	s_barrier_wait -1
	s_and_saveexec_b32 s11, s0
	s_cbranch_execz .LBB6_7
; %bb.4:                                ;   in Loop: Header=BB6_3 Depth=1
	ds_load_2addr_b32 v[30:31], v9 offset1:1
	v_mov_b64_e32 v[6:7], 0
	s_mov_b32 s26, exec_lo
	s_wait_dscnt 0x0
	v_cmpx_eq_u32_e64 v31, v30
; %bb.5:                                ;   in Loop: Header=BB6_3 Depth=1
	ds_load_b64 v[6:7], v10
; %bb.6:                                ;   in Loop: Header=BB6_3 Depth=1
	s_or_b32 exec_lo, exec_lo, s26
.LBB6_7:                                ;   in Loop: Header=BB6_3 Depth=1
	s_delay_alu instid0(SALU_CYCLE_1)
	s_or_b32 exec_lo, exec_lo, s11
	s_wait_dscnt 0x0
	s_barrier_signal -1
	s_barrier_wait -1
	ds_load_b64 v[30:31], v1
	s_wait_dscnt 0x0
	v_add_f64_e32 v[6:7], v[6:7], v[30:31]
	ds_store_b64 v1, v[6:7]
	s_wait_dscnt 0x0
	s_barrier_signal -1
	s_barrier_wait -1
	s_and_saveexec_b32 s11, s1
	s_cbranch_execz .LBB6_11
; %bb.8:                                ;   in Loop: Header=BB6_3 Depth=1
	ds_load_b32 v2, v8
	ds_load_b32 v6, v11
	v_mov_b64_e32 v[4:5], 0
	s_mov_b32 s26, exec_lo
	s_wait_dscnt 0x0
	v_cmpx_eq_u32_e64 v2, v6
; %bb.9:                                ;   in Loop: Header=BB6_3 Depth=1
	ds_load_b64 v[4:5], v12
; %bb.10:                               ;   in Loop: Header=BB6_3 Depth=1
	s_or_b32 exec_lo, exec_lo, s26
.LBB6_11:                               ;   in Loop: Header=BB6_3 Depth=1
	s_delay_alu instid0(SALU_CYCLE_1)
	s_or_b32 exec_lo, exec_lo, s11
	s_wait_dscnt 0x0
	s_barrier_signal -1
	s_barrier_wait -1
	ds_load_b64 v[6:7], v1
	s_wait_dscnt 0x0
	v_add_f64_e32 v[30:31], v[4:5], v[6:7]
	v_mov_b64_e32 v[4:5], 0
	v_mov_b64_e32 v[6:7], 0
	ds_store_b64 v1, v[30:31]
	s_wait_dscnt 0x0
	s_barrier_signal -1
	s_barrier_wait -1
	s_and_saveexec_b32 s11, s2
	s_cbranch_execz .LBB6_15
; %bb.12:                               ;   in Loop: Header=BB6_3 Depth=1
	ds_load_b32 v2, v8
	ds_load_b32 v29, v13
	v_mov_b64_e32 v[6:7], 0
	s_mov_b32 s26, exec_lo
	s_wait_dscnt 0x0
	v_cmpx_eq_u32_e64 v2, v29
; %bb.13:                               ;   in Loop: Header=BB6_3 Depth=1
	ds_load_b64 v[6:7], v14
; %bb.14:                               ;   in Loop: Header=BB6_3 Depth=1
	s_or_b32 exec_lo, exec_lo, s26
.LBB6_15:                               ;   in Loop: Header=BB6_3 Depth=1
	s_delay_alu instid0(SALU_CYCLE_1)
	s_or_b32 exec_lo, exec_lo, s11
	s_wait_dscnt 0x0
	s_barrier_signal -1
	s_barrier_wait -1
	ds_load_b64 v[30:31], v1
	s_wait_dscnt 0x0
	v_add_f64_e32 v[6:7], v[6:7], v[30:31]
	ds_store_b64 v1, v[6:7]
	s_wait_dscnt 0x0
	s_barrier_signal -1
	s_barrier_wait -1
	s_and_saveexec_b32 s11, s3
	s_cbranch_execz .LBB6_19
; %bb.16:                               ;   in Loop: Header=BB6_3 Depth=1
	ds_load_b32 v2, v8
	ds_load_b32 v6, v15
	v_mov_b64_e32 v[4:5], 0
	s_mov_b32 s26, exec_lo
	s_wait_dscnt 0x0
	v_cmpx_eq_u32_e64 v2, v6
; %bb.17:                               ;   in Loop: Header=BB6_3 Depth=1
	ds_load_b64 v[4:5], v16
; %bb.18:                               ;   in Loop: Header=BB6_3 Depth=1
	s_or_b32 exec_lo, exec_lo, s26
.LBB6_19:                               ;   in Loop: Header=BB6_3 Depth=1
	s_delay_alu instid0(SALU_CYCLE_1)
	s_or_b32 exec_lo, exec_lo, s11
	s_wait_dscnt 0x0
	s_barrier_signal -1
	s_barrier_wait -1
	ds_load_b64 v[6:7], v1
	s_wait_dscnt 0x0
	v_add_f64_e32 v[30:31], v[4:5], v[6:7]
	v_mov_b64_e32 v[4:5], 0
	v_mov_b64_e32 v[6:7], 0
	ds_store_b64 v1, v[30:31]
	s_wait_dscnt 0x0
	s_barrier_signal -1
	s_barrier_wait -1
	s_and_saveexec_b32 s11, s4
	s_cbranch_execz .LBB6_23
; %bb.20:                               ;   in Loop: Header=BB6_3 Depth=1
	ds_load_b32 v2, v8
	ds_load_b32 v29, v17
	v_mov_b64_e32 v[6:7], 0
	s_mov_b32 s26, exec_lo
	s_wait_dscnt 0x0
	v_cmpx_eq_u32_e64 v2, v29
; %bb.21:                               ;   in Loop: Header=BB6_3 Depth=1
	ds_load_b64 v[6:7], v18
; %bb.22:                               ;   in Loop: Header=BB6_3 Depth=1
	s_or_b32 exec_lo, exec_lo, s26
.LBB6_23:                               ;   in Loop: Header=BB6_3 Depth=1
	s_delay_alu instid0(SALU_CYCLE_1)
	s_or_b32 exec_lo, exec_lo, s11
	s_wait_dscnt 0x0
	s_barrier_signal -1
	s_barrier_wait -1
	ds_load_b64 v[30:31], v1
	s_wait_dscnt 0x0
	v_add_f64_e32 v[6:7], v[6:7], v[30:31]
	ds_store_b64 v1, v[6:7]
	s_wait_dscnt 0x0
	s_barrier_signal -1
	s_barrier_wait -1
	s_and_saveexec_b32 s11, s5
	s_cbranch_execz .LBB6_27
; %bb.24:                               ;   in Loop: Header=BB6_3 Depth=1
	ds_load_b32 v2, v8
	ds_load_b32 v6, v19
	v_mov_b64_e32 v[4:5], 0
	s_mov_b32 s26, exec_lo
	s_wait_dscnt 0x0
	v_cmpx_eq_u32_e64 v2, v6
; %bb.25:                               ;   in Loop: Header=BB6_3 Depth=1
	ds_load_b64 v[4:5], v20
; %bb.26:                               ;   in Loop: Header=BB6_3 Depth=1
	s_or_b32 exec_lo, exec_lo, s26
.LBB6_27:                               ;   in Loop: Header=BB6_3 Depth=1
	;; [unrolled: 54-line block ×4, first 2 shown]
	s_delay_alu instid0(SALU_CYCLE_1)
	s_or_b32 exec_lo, exec_lo, s11
	s_wait_dscnt 0x0
	s_barrier_signal -1
	s_barrier_wait -1
	ds_load_b64 v[6:7], v1
	s_wait_dscnt 0x0
	v_add_f64_e32 v[4:5], v[4:5], v[6:7]
	ds_store_b64 v1, v[4:5]
	s_wait_dscnt 0x0
	s_barrier_signal -1
	s_barrier_wait -1
	ds_load_b32 v2, v8
	v_mov_b32_e32 v4, -1
	s_and_saveexec_b32 s11, s10
; %bb.44:                               ;   in Loop: Header=BB6_3 Depth=1
	ds_load_b32 v4, v8 offset:4
; %bb.45:                               ;   in Loop: Header=BB6_3 Depth=1
	s_or_b32 exec_lo, exec_lo, s11
	s_wait_dscnt 0x0
	v_cmp_ne_u32_e32 vcc_lo, v2, v4
	v_cmp_lt_i32_e64 s11, -1, v2
	s_and_b32 s26, s11, vcc_lo
	s_delay_alu instid0(SALU_CYCLE_1)
	s_and_saveexec_b32 s11, s26
	s_cbranch_execz .LBB6_2
; %bb.46:                               ;   in Loop: Header=BB6_3 Depth=1
	s_and_b32 vcc_lo, exec_lo, s25
	s_mov_b32 s26, -1
	s_cbranch_vccz .LBB6_48
; %bb.47:                               ;   in Loop: Header=BB6_3 Depth=1
	v_mul_u64_e32 v[4:5], s[18:19], v[2:3]
	ds_load_b64 v[30:31], v1
	s_mov_b32 s26, 0
	v_lshl_add_u64 v[4:5], v[4:5], 3, s[20:21]
	global_load_b64 v[6:7], v[4:5], off
	s_wait_loadcnt_dscnt 0x0
	v_add_f64_e32 v[6:7], v[6:7], v[30:31]
	global_store_b64 v[4:5], v[6:7], off
.LBB6_48:                               ;   in Loop: Header=BB6_3 Depth=1
	s_and_not1_b32 vcc_lo, exec_lo, s26
	s_cbranch_vccnz .LBB6_2
; %bb.49:                               ;   in Loop: Header=BB6_3 Depth=1
	s_wait_xcnt 0x0
	v_lshl_add_u64 v[4:5], v[2:3], 3, s[16:17]
	ds_load_b64 v[30:31], v1
	global_load_b64 v[6:7], v[4:5], off
	s_wait_loadcnt_dscnt 0x0
	v_add_f64_e32 v[6:7], v[6:7], v[30:31]
	global_store_b64 v[4:5], v[6:7], off
	s_branch .LBB6_2
.LBB6_50:
	s_endpgm
	.section	.rodata,"a",@progbits
	.p2align	6, 0x0
	.amdhsa_kernel _ZN9rocsparseL28csrmmnn_general_block_reduceILj1024EiiddEEvT0_PKT1_PKT3_PT2_l16rocsparse_order_
		.amdhsa_group_segment_fixed_size 12288
		.amdhsa_private_segment_fixed_size 0
		.amdhsa_kernarg_size 44
		.amdhsa_user_sgpr_count 2
		.amdhsa_user_sgpr_dispatch_ptr 0
		.amdhsa_user_sgpr_queue_ptr 0
		.amdhsa_user_sgpr_kernarg_segment_ptr 1
		.amdhsa_user_sgpr_dispatch_id 0
		.amdhsa_user_sgpr_kernarg_preload_length 0
		.amdhsa_user_sgpr_kernarg_preload_offset 0
		.amdhsa_user_sgpr_private_segment_size 0
		.amdhsa_wavefront_size32 1
		.amdhsa_uses_dynamic_stack 0
		.amdhsa_enable_private_segment 0
		.amdhsa_system_sgpr_workgroup_id_x 1
		.amdhsa_system_sgpr_workgroup_id_y 0
		.amdhsa_system_sgpr_workgroup_id_z 0
		.amdhsa_system_sgpr_workgroup_info 0
		.amdhsa_system_vgpr_workitem_id 0
		.amdhsa_next_free_vgpr 32
		.amdhsa_next_free_sgpr 30
		.amdhsa_named_barrier_count 0
		.amdhsa_reserve_vcc 1
		.amdhsa_float_round_mode_32 0
		.amdhsa_float_round_mode_16_64 0
		.amdhsa_float_denorm_mode_32 3
		.amdhsa_float_denorm_mode_16_64 3
		.amdhsa_fp16_overflow 0
		.amdhsa_memory_ordered 1
		.amdhsa_forward_progress 1
		.amdhsa_inst_pref_size 15
		.amdhsa_round_robin_scheduling 0
		.amdhsa_exception_fp_ieee_invalid_op 0
		.amdhsa_exception_fp_denorm_src 0
		.amdhsa_exception_fp_ieee_div_zero 0
		.amdhsa_exception_fp_ieee_overflow 0
		.amdhsa_exception_fp_ieee_underflow 0
		.amdhsa_exception_fp_ieee_inexact 0
		.amdhsa_exception_int_div_zero 0
	.end_amdhsa_kernel
	.section	.text._ZN9rocsparseL28csrmmnn_general_block_reduceILj1024EiiddEEvT0_PKT1_PKT3_PT2_l16rocsparse_order_,"axG",@progbits,_ZN9rocsparseL28csrmmnn_general_block_reduceILj1024EiiddEEvT0_PKT1_PKT3_PT2_l16rocsparse_order_,comdat
.Lfunc_end6:
	.size	_ZN9rocsparseL28csrmmnn_general_block_reduceILj1024EiiddEEvT0_PKT1_PKT3_PT2_l16rocsparse_order_, .Lfunc_end6-_ZN9rocsparseL28csrmmnn_general_block_reduceILj1024EiiddEEvT0_PKT1_PKT3_PT2_l16rocsparse_order_
                                        ; -- End function
	.set _ZN9rocsparseL28csrmmnn_general_block_reduceILj1024EiiddEEvT0_PKT1_PKT3_PT2_l16rocsparse_order_.num_vgpr, 32
	.set _ZN9rocsparseL28csrmmnn_general_block_reduceILj1024EiiddEEvT0_PKT1_PKT3_PT2_l16rocsparse_order_.num_agpr, 0
	.set _ZN9rocsparseL28csrmmnn_general_block_reduceILj1024EiiddEEvT0_PKT1_PKT3_PT2_l16rocsparse_order_.numbered_sgpr, 30
	.set _ZN9rocsparseL28csrmmnn_general_block_reduceILj1024EiiddEEvT0_PKT1_PKT3_PT2_l16rocsparse_order_.num_named_barrier, 0
	.set _ZN9rocsparseL28csrmmnn_general_block_reduceILj1024EiiddEEvT0_PKT1_PKT3_PT2_l16rocsparse_order_.private_seg_size, 0
	.set _ZN9rocsparseL28csrmmnn_general_block_reduceILj1024EiiddEEvT0_PKT1_PKT3_PT2_l16rocsparse_order_.uses_vcc, 1
	.set _ZN9rocsparseL28csrmmnn_general_block_reduceILj1024EiiddEEvT0_PKT1_PKT3_PT2_l16rocsparse_order_.uses_flat_scratch, 0
	.set _ZN9rocsparseL28csrmmnn_general_block_reduceILj1024EiiddEEvT0_PKT1_PKT3_PT2_l16rocsparse_order_.has_dyn_sized_stack, 0
	.set _ZN9rocsparseL28csrmmnn_general_block_reduceILj1024EiiddEEvT0_PKT1_PKT3_PT2_l16rocsparse_order_.has_recursion, 0
	.set _ZN9rocsparseL28csrmmnn_general_block_reduceILj1024EiiddEEvT0_PKT1_PKT3_PT2_l16rocsparse_order_.has_indirect_call, 0
	.section	.AMDGPU.csdata,"",@progbits
; Kernel info:
; codeLenInByte = 1892
; TotalNumSgprs: 32
; NumVgprs: 32
; ScratchSize: 0
; MemoryBound: 0
; FloatMode: 240
; IeeeMode: 1
; LDSByteSize: 12288 bytes/workgroup (compile time only)
; SGPRBlocks: 0
; VGPRBlocks: 1
; NumSGPRsForWavesPerEU: 32
; NumVGPRsForWavesPerEU: 32
; NamedBarCnt: 0
; Occupancy: 16
; WaveLimiterHint : 0
; COMPUTE_PGM_RSRC2:SCRATCH_EN: 0
; COMPUTE_PGM_RSRC2:USER_SGPR: 2
; COMPUTE_PGM_RSRC2:TRAP_HANDLER: 0
; COMPUTE_PGM_RSRC2:TGID_X_EN: 1
; COMPUTE_PGM_RSRC2:TGID_Y_EN: 0
; COMPUTE_PGM_RSRC2:TGID_Z_EN: 0
; COMPUTE_PGM_RSRC2:TIDIG_COMP_CNT: 0
	.section	.text._ZN9rocsparseL28csrmmnn_general_block_reduceILj1024EliddEEvT0_PKT1_PKT3_PT2_l16rocsparse_order_,"axG",@progbits,_ZN9rocsparseL28csrmmnn_general_block_reduceILj1024EliddEEvT0_PKT1_PKT3_PT2_l16rocsparse_order_,comdat
	.globl	_ZN9rocsparseL28csrmmnn_general_block_reduceILj1024EliddEEvT0_PKT1_PKT3_PT2_l16rocsparse_order_ ; -- Begin function _ZN9rocsparseL28csrmmnn_general_block_reduceILj1024EliddEEvT0_PKT1_PKT3_PT2_l16rocsparse_order_
	.p2align	8
	.type	_ZN9rocsparseL28csrmmnn_general_block_reduceILj1024EliddEEvT0_PKT1_PKT3_PT2_l16rocsparse_order_,@function
_ZN9rocsparseL28csrmmnn_general_block_reduceILj1024EliddEEvT0_PKT1_PKT3_PT2_l16rocsparse_order_: ; @_ZN9rocsparseL28csrmmnn_general_block_reduceILj1024EliddEEvT0_PKT1_PKT3_PT2_l16rocsparse_order_
; %bb.0:
	s_load_b64 s[20:21], s[0:1], 0x0
	v_mov_b64_e32 v[2:3], -1
	v_mov_b64_e32 v[4:5], 0
	v_dual_mov_b32 v1, 0 :: v_dual_lshlrev_b32 v10, 3, v0
	s_mov_b32 s2, exec_lo
	ds_store_2addr_stride64_b64 v10, v[2:3], v[4:5] offset1:16
	s_wait_dscnt 0x0
	s_barrier_signal -1
	s_barrier_wait -1
	s_wait_kmcnt 0x0
	v_cmpx_gt_i64_e64 s[20:21], v[0:1]
	s_cbranch_execz .LBB7_50
; %bb.1:
	s_clause 0x1
	s_load_b32 s10, s[0:1], 0x28
	s_load_b256 s[12:19], s[0:1], 0x8
	s_bfe_u32 s2, ttmp6, 0x4000c
	s_and_b32 s3, ttmp6, 15
	s_add_co_i32 s2, s2, 1
	s_getreg_b32 s4, hwreg(HW_REG_IB_STS2, 6, 4)
	s_mul_i32 s2, ttmp9, s2
	s_mov_b32 s23, 0
	s_add_co_i32 s3, s3, s2
	s_cmp_eq_u32 s4, 0
	v_dual_mov_b32 v3, v1 :: v_dual_add_nc_u32 v20, 0xffffff80, v10
	s_cselect_b32 s22, ttmp9, s3
	v_dual_mov_b32 v5, v1 :: v_dual_add_nc_u32 v22, 0xffffff00, v10
	s_lshl_b64 s[26:27], s[22:23], 3
	v_dual_lshlrev_b32 v2, 3, v0 :: v_dual_lshlrev_b32 v4, 2, v0
	v_or_b32_e32 v11, 0x2000, v10
	s_wait_xcnt 0x0
	v_cmp_ne_u32_e64 s0, 0, v0
	s_wait_kmcnt 0x0
	s_cmp_lg_u32 s10, 1
	s_mul_u64 s[10:11], s[20:21], s[22:23]
	s_cselect_b32 s24, -1, 0
	s_lshl_b64 s[10:11], s[10:11], 3
	v_add_nc_u64_e32 v[4:5], s[12:13], v[4:5]
	s_add_nc_u64 s[10:11], s[14:15], s[10:11]
	s_mul_u64 s[12:13], s[18:19], s[22:23]
	v_add_nc_u64_e32 v[2:3], s[10:11], v[2:3]
	v_dual_add_nc_u32 v12, -8, v10 :: v_dual_add_nc_u32 v13, -8, v11
	v_cmp_lt_u32_e64 s1, 1, v0
	v_dual_add_nc_u32 v14, -16, v10 :: v_dual_add_nc_u32 v15, -16, v11
	v_cmp_lt_u32_e64 s2, 3, v0
	v_subrev_nc_u32_e32 v16, 32, v10
	v_subrev_nc_u32_e32 v17, 32, v11
	v_cmp_lt_u32_e64 s3, 7, v0
	v_subrev_nc_u32_e32 v18, 64, v10
	v_subrev_nc_u32_e32 v19, 64, v11
	v_cmp_lt_u32_e64 s4, 15, v0
	v_add_nc_u32_e32 v21, 0xffffff80, v11
	v_cmp_lt_u32_e64 s5, 31, v0
	v_add_nc_u32_e32 v23, 0xffffff00, v11
	v_cmp_lt_u32_e64 s6, 63, v0
	v_add_nc_u32_e32 v24, 0xfffffe00, v10
	v_add_nc_u32_e32 v25, 0xfffffe00, v11
	v_cmp_lt_u32_e64 s7, 0x7f, v0
	v_add_nc_u32_e32 v26, 0xfffffc00, v10
	v_add_nc_u32_e32 v27, 0xfffffc00, v11
	v_cmp_lt_u32_e64 s8, 0xff, v0
	v_add_nc_u32_e32 v28, 0xfffff800, v10
	;; [unrolled: 3-line block ×3, first 2 shown]
	v_add_nc_u32_e32 v31, 0xfffff000, v11
	v_cmp_ne_u32_e64 s10, 0x3ff, v0
	s_lshl_b64 s[14:15], s[12:13], 3
	s_add_nc_u64 s[12:13], s[16:17], s[26:27]
	s_add_nc_u64 s[14:15], s[16:17], s[14:15]
	s_branch .LBB7_3
.LBB7_2:                                ;   in Loop: Header=BB7_3 Depth=1
	s_wait_xcnt 0x0
	s_or_b32 exec_lo, exec_lo, s11
	v_add_nc_u64_e32 v[0:1], 0x400, v[0:1]
	v_add_nc_u64_e32 v[2:3], 0x2000, v[2:3]
	;; [unrolled: 1-line block ×3, first 2 shown]
	s_wait_storecnt 0x0
	s_barrier_signal -1
	s_barrier_wait -1
	s_delay_alu instid0(VALU_DEP_3) | instskip(SKIP_1) | instid1(SALU_CYCLE_1)
	v_cmp_le_i64_e32 vcc_lo, s[20:21], v[0:1]
	s_or_b32 s23, vcc_lo, s23
	s_and_not1_b32 exec_lo, exec_lo, s23
	s_cbranch_execz .LBB7_50
.LBB7_3:                                ; =>This Inner Loop Header: Depth=1
	global_load_b32 v32, v[4:5], off
	global_load_b64 v[34:35], v[2:3], off
	v_mov_b64_e32 v[6:7], 0
	v_mov_b64_e32 v[8:9], 0
	s_wait_loadcnt 0x1
	v_ashrrev_i32_e32 v33, 31, v32
	ds_store_b64 v10, v[32:33]
	s_wait_loadcnt 0x0
	ds_store_b64 v11, v[34:35]
	s_wait_dscnt 0x0
	s_barrier_signal -1
	s_barrier_wait -1
	s_and_saveexec_b32 s11, s0
	s_cbranch_execz .LBB7_7
; %bb.4:                                ;   in Loop: Header=BB7_3 Depth=1
	ds_load_2addr_b64 v[32:35], v12 offset1:1
	v_mov_b64_e32 v[8:9], 0
	s_mov_b32 s16, exec_lo
	s_wait_dscnt 0x0
	v_cmpx_eq_u64_e64 v[34:35], v[32:33]
; %bb.5:                                ;   in Loop: Header=BB7_3 Depth=1
	ds_load_b64 v[8:9], v13
; %bb.6:                                ;   in Loop: Header=BB7_3 Depth=1
	s_or_b32 exec_lo, exec_lo, s16
.LBB7_7:                                ;   in Loop: Header=BB7_3 Depth=1
	s_delay_alu instid0(SALU_CYCLE_1)
	s_or_b32 exec_lo, exec_lo, s11
	s_wait_dscnt 0x0
	s_barrier_signal -1
	s_barrier_wait -1
	ds_load_b64 v[32:33], v11
	s_wait_dscnt 0x0
	v_add_f64_e32 v[8:9], v[8:9], v[32:33]
	ds_store_b64 v11, v[8:9]
	s_wait_dscnt 0x0
	s_barrier_signal -1
	s_barrier_wait -1
	s_and_saveexec_b32 s11, s1
	s_cbranch_execz .LBB7_11
; %bb.8:                                ;   in Loop: Header=BB7_3 Depth=1
	ds_load_b64 v[6:7], v10
	ds_load_b64 v[8:9], v14
	s_wait_dscnt 0x0
	v_cmp_eq_u64_e32 vcc_lo, v[6:7], v[8:9]
	v_mov_b64_e32 v[6:7], 0
	s_and_saveexec_b32 s16, vcc_lo
; %bb.9:                                ;   in Loop: Header=BB7_3 Depth=1
	ds_load_b64 v[6:7], v15
; %bb.10:                               ;   in Loop: Header=BB7_3 Depth=1
	s_or_b32 exec_lo, exec_lo, s16
.LBB7_11:                               ;   in Loop: Header=BB7_3 Depth=1
	s_delay_alu instid0(SALU_CYCLE_1)
	s_or_b32 exec_lo, exec_lo, s11
	s_wait_dscnt 0x0
	s_barrier_signal -1
	s_barrier_wait -1
	ds_load_b64 v[8:9], v11
	s_wait_dscnt 0x0
	v_add_f64_e32 v[32:33], v[6:7], v[8:9]
	v_mov_b64_e32 v[6:7], 0
	v_mov_b64_e32 v[8:9], 0
	ds_store_b64 v11, v[32:33]
	s_wait_dscnt 0x0
	s_barrier_signal -1
	s_barrier_wait -1
	s_and_saveexec_b32 s11, s2
	s_cbranch_execz .LBB7_15
; %bb.12:                               ;   in Loop: Header=BB7_3 Depth=1
	ds_load_b64 v[8:9], v10
	ds_load_b64 v[32:33], v16
	s_wait_dscnt 0x0
	v_cmp_eq_u64_e32 vcc_lo, v[8:9], v[32:33]
	v_mov_b64_e32 v[8:9], 0
	s_and_saveexec_b32 s16, vcc_lo
; %bb.13:                               ;   in Loop: Header=BB7_3 Depth=1
	ds_load_b64 v[8:9], v17
; %bb.14:                               ;   in Loop: Header=BB7_3 Depth=1
	s_or_b32 exec_lo, exec_lo, s16
.LBB7_15:                               ;   in Loop: Header=BB7_3 Depth=1
	s_delay_alu instid0(SALU_CYCLE_1)
	s_or_b32 exec_lo, exec_lo, s11
	s_wait_dscnt 0x0
	s_barrier_signal -1
	s_barrier_wait -1
	ds_load_b64 v[32:33], v11
	s_wait_dscnt 0x0
	v_add_f64_e32 v[8:9], v[8:9], v[32:33]
	ds_store_b64 v11, v[8:9]
	s_wait_dscnt 0x0
	s_barrier_signal -1
	s_barrier_wait -1
	s_and_saveexec_b32 s11, s3
	s_cbranch_execz .LBB7_19
; %bb.16:                               ;   in Loop: Header=BB7_3 Depth=1
	ds_load_b64 v[6:7], v10
	ds_load_b64 v[8:9], v18
	s_wait_dscnt 0x0
	v_cmp_eq_u64_e32 vcc_lo, v[6:7], v[8:9]
	v_mov_b64_e32 v[6:7], 0
	s_and_saveexec_b32 s16, vcc_lo
; %bb.17:                               ;   in Loop: Header=BB7_3 Depth=1
	ds_load_b64 v[6:7], v19
; %bb.18:                               ;   in Loop: Header=BB7_3 Depth=1
	s_or_b32 exec_lo, exec_lo, s16
.LBB7_19:                               ;   in Loop: Header=BB7_3 Depth=1
	s_delay_alu instid0(SALU_CYCLE_1)
	s_or_b32 exec_lo, exec_lo, s11
	s_wait_dscnt 0x0
	s_barrier_signal -1
	s_barrier_wait -1
	ds_load_b64 v[8:9], v11
	s_wait_dscnt 0x0
	v_add_f64_e32 v[32:33], v[6:7], v[8:9]
	v_mov_b64_e32 v[6:7], 0
	v_mov_b64_e32 v[8:9], 0
	ds_store_b64 v11, v[32:33]
	s_wait_dscnt 0x0
	s_barrier_signal -1
	s_barrier_wait -1
	s_and_saveexec_b32 s11, s4
	s_cbranch_execz .LBB7_23
; %bb.20:                               ;   in Loop: Header=BB7_3 Depth=1
	ds_load_b64 v[8:9], v10
	ds_load_b64 v[32:33], v20
	s_wait_dscnt 0x0
	v_cmp_eq_u64_e32 vcc_lo, v[8:9], v[32:33]
	v_mov_b64_e32 v[8:9], 0
	s_and_saveexec_b32 s16, vcc_lo
; %bb.21:                               ;   in Loop: Header=BB7_3 Depth=1
	ds_load_b64 v[8:9], v21
; %bb.22:                               ;   in Loop: Header=BB7_3 Depth=1
	s_or_b32 exec_lo, exec_lo, s16
.LBB7_23:                               ;   in Loop: Header=BB7_3 Depth=1
	s_delay_alu instid0(SALU_CYCLE_1)
	s_or_b32 exec_lo, exec_lo, s11
	s_wait_dscnt 0x0
	s_barrier_signal -1
	s_barrier_wait -1
	ds_load_b64 v[32:33], v11
	s_wait_dscnt 0x0
	v_add_f64_e32 v[8:9], v[8:9], v[32:33]
	ds_store_b64 v11, v[8:9]
	s_wait_dscnt 0x0
	s_barrier_signal -1
	s_barrier_wait -1
	s_and_saveexec_b32 s11, s5
	s_cbranch_execz .LBB7_27
; %bb.24:                               ;   in Loop: Header=BB7_3 Depth=1
	ds_load_b64 v[6:7], v10
	ds_load_b64 v[8:9], v22
	s_wait_dscnt 0x0
	v_cmp_eq_u64_e32 vcc_lo, v[6:7], v[8:9]
	v_mov_b64_e32 v[6:7], 0
	s_and_saveexec_b32 s16, vcc_lo
; %bb.25:                               ;   in Loop: Header=BB7_3 Depth=1
	ds_load_b64 v[6:7], v23
; %bb.26:                               ;   in Loop: Header=BB7_3 Depth=1
	s_or_b32 exec_lo, exec_lo, s16
.LBB7_27:                               ;   in Loop: Header=BB7_3 Depth=1
	;; [unrolled: 54-line block ×4, first 2 shown]
	s_delay_alu instid0(SALU_CYCLE_1)
	s_or_b32 exec_lo, exec_lo, s11
	s_wait_dscnt 0x0
	s_barrier_signal -1
	s_barrier_wait -1
	ds_load_b64 v[8:9], v11
	s_wait_dscnt 0x0
	v_add_f64_e32 v[6:7], v[6:7], v[8:9]
	v_mov_b64_e32 v[8:9], -1
	ds_store_b64 v11, v[6:7]
	s_wait_dscnt 0x0
	s_barrier_signal -1
	s_barrier_wait -1
	ds_load_b64 v[6:7], v10
	s_and_saveexec_b32 s11, s10
; %bb.44:                               ;   in Loop: Header=BB7_3 Depth=1
	ds_load_b64 v[8:9], v10 offset:8
; %bb.45:                               ;   in Loop: Header=BB7_3 Depth=1
	s_or_b32 exec_lo, exec_lo, s11
	s_wait_dscnt 0x0
	v_cmp_ne_u64_e32 vcc_lo, v[6:7], v[8:9]
	v_cmp_lt_i64_e64 s11, -1, v[6:7]
	s_and_b32 s16, s11, vcc_lo
	s_delay_alu instid0(SALU_CYCLE_1)
	s_and_saveexec_b32 s11, s16
	s_cbranch_execz .LBB7_2
; %bb.46:                               ;   in Loop: Header=BB7_3 Depth=1
	s_and_b32 vcc_lo, exec_lo, s24
	s_mov_b32 s16, -1
	s_cbranch_vccz .LBB7_48
; %bb.47:                               ;   in Loop: Header=BB7_3 Depth=1
	v_mul_u64_e32 v[8:9], s[18:19], v[6:7]
	ds_load_b64 v[34:35], v11
	s_mov_b32 s16, 0
	v_lshl_add_u64 v[8:9], v[8:9], 3, s[12:13]
	global_load_b64 v[32:33], v[8:9], off
	s_wait_loadcnt_dscnt 0x0
	v_add_f64_e32 v[32:33], v[32:33], v[34:35]
	global_store_b64 v[8:9], v[32:33], off
.LBB7_48:                               ;   in Loop: Header=BB7_3 Depth=1
	s_and_not1_b32 vcc_lo, exec_lo, s16
	s_cbranch_vccnz .LBB7_2
; %bb.49:                               ;   in Loop: Header=BB7_3 Depth=1
	v_lshl_add_u64 v[6:7], v[6:7], 3, s[14:15]
	s_wait_xcnt 0x0
	ds_load_b64 v[32:33], v11
	global_load_b64 v[8:9], v[6:7], off
	s_wait_loadcnt_dscnt 0x0
	v_add_f64_e32 v[8:9], v[8:9], v[32:33]
	global_store_b64 v[6:7], v[8:9], off
	s_branch .LBB7_2
.LBB7_50:
	s_endpgm
	.section	.rodata,"a",@progbits
	.p2align	6, 0x0
	.amdhsa_kernel _ZN9rocsparseL28csrmmnn_general_block_reduceILj1024EliddEEvT0_PKT1_PKT3_PT2_l16rocsparse_order_
		.amdhsa_group_segment_fixed_size 16384
		.amdhsa_private_segment_fixed_size 0
		.amdhsa_kernarg_size 44
		.amdhsa_user_sgpr_count 2
		.amdhsa_user_sgpr_dispatch_ptr 0
		.amdhsa_user_sgpr_queue_ptr 0
		.amdhsa_user_sgpr_kernarg_segment_ptr 1
		.amdhsa_user_sgpr_dispatch_id 0
		.amdhsa_user_sgpr_kernarg_preload_length 0
		.amdhsa_user_sgpr_kernarg_preload_offset 0
		.amdhsa_user_sgpr_private_segment_size 0
		.amdhsa_wavefront_size32 1
		.amdhsa_uses_dynamic_stack 0
		.amdhsa_enable_private_segment 0
		.amdhsa_system_sgpr_workgroup_id_x 1
		.amdhsa_system_sgpr_workgroup_id_y 0
		.amdhsa_system_sgpr_workgroup_id_z 0
		.amdhsa_system_sgpr_workgroup_info 0
		.amdhsa_system_vgpr_workitem_id 0
		.amdhsa_next_free_vgpr 36
		.amdhsa_next_free_sgpr 28
		.amdhsa_named_barrier_count 0
		.amdhsa_reserve_vcc 1
		.amdhsa_float_round_mode_32 0
		.amdhsa_float_round_mode_16_64 0
		.amdhsa_float_denorm_mode_32 3
		.amdhsa_float_denorm_mode_16_64 3
		.amdhsa_fp16_overflow 0
		.amdhsa_memory_ordered 1
		.amdhsa_forward_progress 1
		.amdhsa_inst_pref_size 15
		.amdhsa_round_robin_scheduling 0
		.amdhsa_exception_fp_ieee_invalid_op 0
		.amdhsa_exception_fp_denorm_src 0
		.amdhsa_exception_fp_ieee_div_zero 0
		.amdhsa_exception_fp_ieee_overflow 0
		.amdhsa_exception_fp_ieee_underflow 0
		.amdhsa_exception_fp_ieee_inexact 0
		.amdhsa_exception_int_div_zero 0
	.end_amdhsa_kernel
	.section	.text._ZN9rocsparseL28csrmmnn_general_block_reduceILj1024EliddEEvT0_PKT1_PKT3_PT2_l16rocsparse_order_,"axG",@progbits,_ZN9rocsparseL28csrmmnn_general_block_reduceILj1024EliddEEvT0_PKT1_PKT3_PT2_l16rocsparse_order_,comdat
.Lfunc_end7:
	.size	_ZN9rocsparseL28csrmmnn_general_block_reduceILj1024EliddEEvT0_PKT1_PKT3_PT2_l16rocsparse_order_, .Lfunc_end7-_ZN9rocsparseL28csrmmnn_general_block_reduceILj1024EliddEEvT0_PKT1_PKT3_PT2_l16rocsparse_order_
                                        ; -- End function
	.set _ZN9rocsparseL28csrmmnn_general_block_reduceILj1024EliddEEvT0_PKT1_PKT3_PT2_l16rocsparse_order_.num_vgpr, 36
	.set _ZN9rocsparseL28csrmmnn_general_block_reduceILj1024EliddEEvT0_PKT1_PKT3_PT2_l16rocsparse_order_.num_agpr, 0
	.set _ZN9rocsparseL28csrmmnn_general_block_reduceILj1024EliddEEvT0_PKT1_PKT3_PT2_l16rocsparse_order_.numbered_sgpr, 28
	.set _ZN9rocsparseL28csrmmnn_general_block_reduceILj1024EliddEEvT0_PKT1_PKT3_PT2_l16rocsparse_order_.num_named_barrier, 0
	.set _ZN9rocsparseL28csrmmnn_general_block_reduceILj1024EliddEEvT0_PKT1_PKT3_PT2_l16rocsparse_order_.private_seg_size, 0
	.set _ZN9rocsparseL28csrmmnn_general_block_reduceILj1024EliddEEvT0_PKT1_PKT3_PT2_l16rocsparse_order_.uses_vcc, 1
	.set _ZN9rocsparseL28csrmmnn_general_block_reduceILj1024EliddEEvT0_PKT1_PKT3_PT2_l16rocsparse_order_.uses_flat_scratch, 0
	.set _ZN9rocsparseL28csrmmnn_general_block_reduceILj1024EliddEEvT0_PKT1_PKT3_PT2_l16rocsparse_order_.has_dyn_sized_stack, 0
	.set _ZN9rocsparseL28csrmmnn_general_block_reduceILj1024EliddEEvT0_PKT1_PKT3_PT2_l16rocsparse_order_.has_recursion, 0
	.set _ZN9rocsparseL28csrmmnn_general_block_reduceILj1024EliddEEvT0_PKT1_PKT3_PT2_l16rocsparse_order_.has_indirect_call, 0
	.section	.AMDGPU.csdata,"",@progbits
; Kernel info:
; codeLenInByte = 1892
; TotalNumSgprs: 30
; NumVgprs: 36
; ScratchSize: 0
; MemoryBound: 0
; FloatMode: 240
; IeeeMode: 1
; LDSByteSize: 16384 bytes/workgroup (compile time only)
; SGPRBlocks: 0
; VGPRBlocks: 2
; NumSGPRsForWavesPerEU: 30
; NumVGPRsForWavesPerEU: 36
; NamedBarCnt: 0
; Occupancy: 16
; WaveLimiterHint : 0
; COMPUTE_PGM_RSRC2:SCRATCH_EN: 0
; COMPUTE_PGM_RSRC2:USER_SGPR: 2
; COMPUTE_PGM_RSRC2:TRAP_HANDLER: 0
; COMPUTE_PGM_RSRC2:TGID_X_EN: 1
; COMPUTE_PGM_RSRC2:TGID_Y_EN: 0
; COMPUTE_PGM_RSRC2:TGID_Z_EN: 0
; COMPUTE_PGM_RSRC2:TIDIG_COMP_CNT: 0
	.section	.text._ZN9rocsparseL28csrmmnn_general_block_reduceILj1024EllddEEvT0_PKT1_PKT3_PT2_l16rocsparse_order_,"axG",@progbits,_ZN9rocsparseL28csrmmnn_general_block_reduceILj1024EllddEEvT0_PKT1_PKT3_PT2_l16rocsparse_order_,comdat
	.globl	_ZN9rocsparseL28csrmmnn_general_block_reduceILj1024EllddEEvT0_PKT1_PKT3_PT2_l16rocsparse_order_ ; -- Begin function _ZN9rocsparseL28csrmmnn_general_block_reduceILj1024EllddEEvT0_PKT1_PKT3_PT2_l16rocsparse_order_
	.p2align	8
	.type	_ZN9rocsparseL28csrmmnn_general_block_reduceILj1024EllddEEvT0_PKT1_PKT3_PT2_l16rocsparse_order_,@function
_ZN9rocsparseL28csrmmnn_general_block_reduceILj1024EllddEEvT0_PKT1_PKT3_PT2_l16rocsparse_order_: ; @_ZN9rocsparseL28csrmmnn_general_block_reduceILj1024EllddEEvT0_PKT1_PKT3_PT2_l16rocsparse_order_
; %bb.0:
	s_load_b64 s[20:21], s[0:1], 0x0
	v_mov_b64_e32 v[2:3], -1
	v_mov_b64_e32 v[4:5], 0
	v_dual_mov_b32 v1, 0 :: v_dual_lshlrev_b32 v10, 3, v0
	s_mov_b32 s2, exec_lo
	ds_store_2addr_stride64_b64 v10, v[2:3], v[4:5] offset1:16
	s_wait_dscnt 0x0
	s_barrier_signal -1
	s_barrier_wait -1
	s_wait_kmcnt 0x0
	v_cmpx_gt_i64_e64 s[20:21], v[0:1]
	s_cbranch_execz .LBB8_50
; %bb.1:
	s_clause 0x1
	s_load_b32 s9, s[0:1], 0x28
	s_load_b256 s[12:19], s[0:1], 0x8
	s_bfe_u32 s2, ttmp6, 0x4000c
	s_and_b32 s3, ttmp6, 15
	s_add_co_i32 s2, s2, 1
	s_getreg_b32 s4, hwreg(HW_REG_IB_STS2, 6, 4)
	s_mul_i32 s2, ttmp9, s2
	s_mov_b32 s23, 0
	s_add_co_i32 s3, s3, s2
	s_cmp_eq_u32 s4, 0
	v_dual_mov_b32 v5, v1 :: v_dual_add_nc_u32 v20, 0xffffff80, v10
	s_cselect_b32 s22, ttmp9, s3
	v_lshlrev_b32_e32 v4, 3, v0
	s_lshl_b64 s[26:27], s[22:23], 3
	s_mul_u64 s[10:11], s[20:21], s[22:23]
	v_or_b32_e32 v11, 0x2000, v10
	s_wait_xcnt 0x0
	v_cmp_ne_u32_e64 s0, 0, v0
	v_add_nc_u32_e32 v12, -8, v10
	v_cmp_lt_u32_e64 s1, 1, v0
	s_wait_kmcnt 0x0
	s_cmp_lg_u32 s9, 1
	v_add_nc_u32_e32 v13, -8, v11
	s_cselect_b32 s24, -1, 0
	s_lshl_b64 s[10:11], s[10:11], 3
	v_dual_add_nc_u32 v14, -16, v10 :: v_dual_add_nc_u32 v15, -16, v11
	s_add_nc_u64 s[10:11], s[14:15], s[10:11]
	v_cmp_lt_u32_e64 s2, 3, v0
	v_add_nc_u64_e32 v[2:3], s[10:11], v[4:5]
	v_add_nc_u64_e32 v[4:5], s[12:13], v[4:5]
	s_mul_u64 s[12:13], s[18:19], s[22:23]
	v_subrev_nc_u32_e32 v16, 32, v10
	v_subrev_nc_u32_e32 v17, 32, v11
	v_cmp_lt_u32_e64 s3, 7, v0
	v_subrev_nc_u32_e32 v18, 64, v10
	v_subrev_nc_u32_e32 v19, 64, v11
	v_cmp_lt_u32_e64 s4, 15, v0
	v_add_nc_u32_e32 v21, 0xffffff80, v11
	v_cmp_lt_u32_e64 s5, 31, v0
	v_add_nc_u32_e32 v22, 0xffffff00, v10
	v_add_nc_u32_e32 v23, 0xffffff00, v11
	v_cmp_lt_u32_e64 s6, 63, v0
	v_add_nc_u32_e32 v24, 0xfffffe00, v10
	;; [unrolled: 3-line block ×5, first 2 shown]
	v_add_nc_u32_e32 v31, 0xfffff000, v11
	v_cmp_ne_u32_e64 s10, 0x3ff, v0
	s_lshl_b64 s[14:15], s[12:13], 3
	s_add_nc_u64 s[12:13], s[16:17], s[26:27]
	s_add_nc_u64 s[14:15], s[16:17], s[14:15]
	s_branch .LBB8_3
.LBB8_2:                                ;   in Loop: Header=BB8_3 Depth=1
	s_wait_xcnt 0x0
	s_or_b32 exec_lo, exec_lo, s11
	v_add_nc_u64_e32 v[0:1], 0x400, v[0:1]
	v_add_nc_u64_e32 v[2:3], 0x2000, v[2:3]
	v_add_nc_u64_e32 v[4:5], 0x2000, v[4:5]
	s_wait_storecnt 0x0
	s_barrier_signal -1
	s_barrier_wait -1
	s_delay_alu instid0(VALU_DEP_3) | instskip(SKIP_1) | instid1(SALU_CYCLE_1)
	v_cmp_le_i64_e32 vcc_lo, s[20:21], v[0:1]
	s_or_b32 s23, vcc_lo, s23
	s_and_not1_b32 exec_lo, exec_lo, s23
	s_cbranch_execz .LBB8_50
.LBB8_3:                                ; =>This Inner Loop Header: Depth=1
	global_load_b64 v[32:33], v[4:5], off
	global_load_b64 v[34:35], v[2:3], off
	v_mov_b64_e32 v[6:7], 0
	v_mov_b64_e32 v[8:9], 0
	s_wait_loadcnt 0x1
	ds_store_b64 v10, v[32:33]
	s_wait_loadcnt 0x0
	ds_store_b64 v11, v[34:35]
	s_wait_dscnt 0x0
	s_barrier_signal -1
	s_barrier_wait -1
	s_and_saveexec_b32 s11, s0
	s_cbranch_execz .LBB8_7
; %bb.4:                                ;   in Loop: Header=BB8_3 Depth=1
	ds_load_2addr_b64 v[32:35], v12 offset1:1
	v_mov_b64_e32 v[8:9], 0
	s_mov_b32 s16, exec_lo
	s_wait_dscnt 0x0
	v_cmpx_eq_u64_e64 v[34:35], v[32:33]
; %bb.5:                                ;   in Loop: Header=BB8_3 Depth=1
	ds_load_b64 v[8:9], v13
; %bb.6:                                ;   in Loop: Header=BB8_3 Depth=1
	s_or_b32 exec_lo, exec_lo, s16
.LBB8_7:                                ;   in Loop: Header=BB8_3 Depth=1
	s_delay_alu instid0(SALU_CYCLE_1)
	s_or_b32 exec_lo, exec_lo, s11
	s_wait_dscnt 0x0
	s_barrier_signal -1
	s_barrier_wait -1
	ds_load_b64 v[32:33], v11
	s_wait_dscnt 0x0
	v_add_f64_e32 v[8:9], v[8:9], v[32:33]
	ds_store_b64 v11, v[8:9]
	s_wait_dscnt 0x0
	s_barrier_signal -1
	s_barrier_wait -1
	s_and_saveexec_b32 s11, s1
	s_cbranch_execz .LBB8_11
; %bb.8:                                ;   in Loop: Header=BB8_3 Depth=1
	ds_load_b64 v[6:7], v10
	ds_load_b64 v[8:9], v14
	s_wait_dscnt 0x0
	v_cmp_eq_u64_e32 vcc_lo, v[6:7], v[8:9]
	v_mov_b64_e32 v[6:7], 0
	s_and_saveexec_b32 s16, vcc_lo
; %bb.9:                                ;   in Loop: Header=BB8_3 Depth=1
	ds_load_b64 v[6:7], v15
; %bb.10:                               ;   in Loop: Header=BB8_3 Depth=1
	s_or_b32 exec_lo, exec_lo, s16
.LBB8_11:                               ;   in Loop: Header=BB8_3 Depth=1
	s_delay_alu instid0(SALU_CYCLE_1)
	s_or_b32 exec_lo, exec_lo, s11
	s_wait_dscnt 0x0
	s_barrier_signal -1
	s_barrier_wait -1
	ds_load_b64 v[8:9], v11
	s_wait_dscnt 0x0
	v_add_f64_e32 v[32:33], v[6:7], v[8:9]
	v_mov_b64_e32 v[6:7], 0
	v_mov_b64_e32 v[8:9], 0
	ds_store_b64 v11, v[32:33]
	s_wait_dscnt 0x0
	s_barrier_signal -1
	s_barrier_wait -1
	s_and_saveexec_b32 s11, s2
	s_cbranch_execz .LBB8_15
; %bb.12:                               ;   in Loop: Header=BB8_3 Depth=1
	ds_load_b64 v[8:9], v10
	ds_load_b64 v[32:33], v16
	s_wait_dscnt 0x0
	v_cmp_eq_u64_e32 vcc_lo, v[8:9], v[32:33]
	v_mov_b64_e32 v[8:9], 0
	s_and_saveexec_b32 s16, vcc_lo
; %bb.13:                               ;   in Loop: Header=BB8_3 Depth=1
	ds_load_b64 v[8:9], v17
; %bb.14:                               ;   in Loop: Header=BB8_3 Depth=1
	s_or_b32 exec_lo, exec_lo, s16
.LBB8_15:                               ;   in Loop: Header=BB8_3 Depth=1
	s_delay_alu instid0(SALU_CYCLE_1)
	s_or_b32 exec_lo, exec_lo, s11
	s_wait_dscnt 0x0
	s_barrier_signal -1
	s_barrier_wait -1
	ds_load_b64 v[32:33], v11
	s_wait_dscnt 0x0
	v_add_f64_e32 v[8:9], v[8:9], v[32:33]
	ds_store_b64 v11, v[8:9]
	s_wait_dscnt 0x0
	s_barrier_signal -1
	s_barrier_wait -1
	s_and_saveexec_b32 s11, s3
	s_cbranch_execz .LBB8_19
; %bb.16:                               ;   in Loop: Header=BB8_3 Depth=1
	ds_load_b64 v[6:7], v10
	ds_load_b64 v[8:9], v18
	s_wait_dscnt 0x0
	v_cmp_eq_u64_e32 vcc_lo, v[6:7], v[8:9]
	v_mov_b64_e32 v[6:7], 0
	s_and_saveexec_b32 s16, vcc_lo
; %bb.17:                               ;   in Loop: Header=BB8_3 Depth=1
	ds_load_b64 v[6:7], v19
; %bb.18:                               ;   in Loop: Header=BB8_3 Depth=1
	s_or_b32 exec_lo, exec_lo, s16
.LBB8_19:                               ;   in Loop: Header=BB8_3 Depth=1
	s_delay_alu instid0(SALU_CYCLE_1)
	s_or_b32 exec_lo, exec_lo, s11
	s_wait_dscnt 0x0
	s_barrier_signal -1
	s_barrier_wait -1
	ds_load_b64 v[8:9], v11
	s_wait_dscnt 0x0
	v_add_f64_e32 v[32:33], v[6:7], v[8:9]
	v_mov_b64_e32 v[6:7], 0
	v_mov_b64_e32 v[8:9], 0
	ds_store_b64 v11, v[32:33]
	s_wait_dscnt 0x0
	s_barrier_signal -1
	s_barrier_wait -1
	s_and_saveexec_b32 s11, s4
	s_cbranch_execz .LBB8_23
; %bb.20:                               ;   in Loop: Header=BB8_3 Depth=1
	ds_load_b64 v[8:9], v10
	ds_load_b64 v[32:33], v20
	s_wait_dscnt 0x0
	v_cmp_eq_u64_e32 vcc_lo, v[8:9], v[32:33]
	v_mov_b64_e32 v[8:9], 0
	s_and_saveexec_b32 s16, vcc_lo
; %bb.21:                               ;   in Loop: Header=BB8_3 Depth=1
	ds_load_b64 v[8:9], v21
; %bb.22:                               ;   in Loop: Header=BB8_3 Depth=1
	s_or_b32 exec_lo, exec_lo, s16
.LBB8_23:                               ;   in Loop: Header=BB8_3 Depth=1
	s_delay_alu instid0(SALU_CYCLE_1)
	s_or_b32 exec_lo, exec_lo, s11
	s_wait_dscnt 0x0
	s_barrier_signal -1
	s_barrier_wait -1
	ds_load_b64 v[32:33], v11
	s_wait_dscnt 0x0
	v_add_f64_e32 v[8:9], v[8:9], v[32:33]
	ds_store_b64 v11, v[8:9]
	s_wait_dscnt 0x0
	s_barrier_signal -1
	s_barrier_wait -1
	s_and_saveexec_b32 s11, s5
	s_cbranch_execz .LBB8_27
; %bb.24:                               ;   in Loop: Header=BB8_3 Depth=1
	ds_load_b64 v[6:7], v10
	ds_load_b64 v[8:9], v22
	s_wait_dscnt 0x0
	v_cmp_eq_u64_e32 vcc_lo, v[6:7], v[8:9]
	v_mov_b64_e32 v[6:7], 0
	s_and_saveexec_b32 s16, vcc_lo
; %bb.25:                               ;   in Loop: Header=BB8_3 Depth=1
	ds_load_b64 v[6:7], v23
; %bb.26:                               ;   in Loop: Header=BB8_3 Depth=1
	s_or_b32 exec_lo, exec_lo, s16
.LBB8_27:                               ;   in Loop: Header=BB8_3 Depth=1
	;; [unrolled: 54-line block ×4, first 2 shown]
	s_delay_alu instid0(SALU_CYCLE_1)
	s_or_b32 exec_lo, exec_lo, s11
	s_wait_dscnt 0x0
	s_barrier_signal -1
	s_barrier_wait -1
	ds_load_b64 v[8:9], v11
	s_wait_dscnt 0x0
	v_add_f64_e32 v[6:7], v[6:7], v[8:9]
	v_mov_b64_e32 v[8:9], -1
	ds_store_b64 v11, v[6:7]
	s_wait_dscnt 0x0
	s_barrier_signal -1
	s_barrier_wait -1
	ds_load_b64 v[6:7], v10
	s_and_saveexec_b32 s11, s10
; %bb.44:                               ;   in Loop: Header=BB8_3 Depth=1
	ds_load_b64 v[8:9], v10 offset:8
; %bb.45:                               ;   in Loop: Header=BB8_3 Depth=1
	s_or_b32 exec_lo, exec_lo, s11
	s_wait_dscnt 0x0
	v_cmp_ne_u64_e32 vcc_lo, v[6:7], v[8:9]
	v_cmp_lt_i64_e64 s11, -1, v[6:7]
	s_and_b32 s16, s11, vcc_lo
	s_delay_alu instid0(SALU_CYCLE_1)
	s_and_saveexec_b32 s11, s16
	s_cbranch_execz .LBB8_2
; %bb.46:                               ;   in Loop: Header=BB8_3 Depth=1
	s_and_b32 vcc_lo, exec_lo, s24
	s_mov_b32 s16, -1
	s_cbranch_vccz .LBB8_48
; %bb.47:                               ;   in Loop: Header=BB8_3 Depth=1
	v_mul_u64_e32 v[8:9], s[18:19], v[6:7]
	ds_load_b64 v[34:35], v11
	s_mov_b32 s16, 0
	v_lshl_add_u64 v[8:9], v[8:9], 3, s[12:13]
	global_load_b64 v[32:33], v[8:9], off
	s_wait_loadcnt_dscnt 0x0
	v_add_f64_e32 v[32:33], v[32:33], v[34:35]
	global_store_b64 v[8:9], v[32:33], off
.LBB8_48:                               ;   in Loop: Header=BB8_3 Depth=1
	s_and_not1_b32 vcc_lo, exec_lo, s16
	s_cbranch_vccnz .LBB8_2
; %bb.49:                               ;   in Loop: Header=BB8_3 Depth=1
	v_lshl_add_u64 v[6:7], v[6:7], 3, s[14:15]
	s_wait_xcnt 0x0
	ds_load_b64 v[32:33], v11
	global_load_b64 v[8:9], v[6:7], off
	s_wait_loadcnt_dscnt 0x0
	v_add_f64_e32 v[8:9], v[8:9], v[32:33]
	global_store_b64 v[6:7], v[8:9], off
	s_branch .LBB8_2
.LBB8_50:
	s_endpgm
	.section	.rodata,"a",@progbits
	.p2align	6, 0x0
	.amdhsa_kernel _ZN9rocsparseL28csrmmnn_general_block_reduceILj1024EllddEEvT0_PKT1_PKT3_PT2_l16rocsparse_order_
		.amdhsa_group_segment_fixed_size 16384
		.amdhsa_private_segment_fixed_size 0
		.amdhsa_kernarg_size 44
		.amdhsa_user_sgpr_count 2
		.amdhsa_user_sgpr_dispatch_ptr 0
		.amdhsa_user_sgpr_queue_ptr 0
		.amdhsa_user_sgpr_kernarg_segment_ptr 1
		.amdhsa_user_sgpr_dispatch_id 0
		.amdhsa_user_sgpr_kernarg_preload_length 0
		.amdhsa_user_sgpr_kernarg_preload_offset 0
		.amdhsa_user_sgpr_private_segment_size 0
		.amdhsa_wavefront_size32 1
		.amdhsa_uses_dynamic_stack 0
		.amdhsa_enable_private_segment 0
		.amdhsa_system_sgpr_workgroup_id_x 1
		.amdhsa_system_sgpr_workgroup_id_y 0
		.amdhsa_system_sgpr_workgroup_id_z 0
		.amdhsa_system_sgpr_workgroup_info 0
		.amdhsa_system_vgpr_workitem_id 0
		.amdhsa_next_free_vgpr 36
		.amdhsa_next_free_sgpr 28
		.amdhsa_named_barrier_count 0
		.amdhsa_reserve_vcc 1
		.amdhsa_float_round_mode_32 0
		.amdhsa_float_round_mode_16_64 0
		.amdhsa_float_denorm_mode_32 3
		.amdhsa_float_denorm_mode_16_64 3
		.amdhsa_fp16_overflow 0
		.amdhsa_memory_ordered 1
		.amdhsa_forward_progress 1
		.amdhsa_inst_pref_size 15
		.amdhsa_round_robin_scheduling 0
		.amdhsa_exception_fp_ieee_invalid_op 0
		.amdhsa_exception_fp_denorm_src 0
		.amdhsa_exception_fp_ieee_div_zero 0
		.amdhsa_exception_fp_ieee_overflow 0
		.amdhsa_exception_fp_ieee_underflow 0
		.amdhsa_exception_fp_ieee_inexact 0
		.amdhsa_exception_int_div_zero 0
	.end_amdhsa_kernel
	.section	.text._ZN9rocsparseL28csrmmnn_general_block_reduceILj1024EllddEEvT0_PKT1_PKT3_PT2_l16rocsparse_order_,"axG",@progbits,_ZN9rocsparseL28csrmmnn_general_block_reduceILj1024EllddEEvT0_PKT1_PKT3_PT2_l16rocsparse_order_,comdat
.Lfunc_end8:
	.size	_ZN9rocsparseL28csrmmnn_general_block_reduceILj1024EllddEEvT0_PKT1_PKT3_PT2_l16rocsparse_order_, .Lfunc_end8-_ZN9rocsparseL28csrmmnn_general_block_reduceILj1024EllddEEvT0_PKT1_PKT3_PT2_l16rocsparse_order_
                                        ; -- End function
	.set _ZN9rocsparseL28csrmmnn_general_block_reduceILj1024EllddEEvT0_PKT1_PKT3_PT2_l16rocsparse_order_.num_vgpr, 36
	.set _ZN9rocsparseL28csrmmnn_general_block_reduceILj1024EllddEEvT0_PKT1_PKT3_PT2_l16rocsparse_order_.num_agpr, 0
	.set _ZN9rocsparseL28csrmmnn_general_block_reduceILj1024EllddEEvT0_PKT1_PKT3_PT2_l16rocsparse_order_.numbered_sgpr, 28
	.set _ZN9rocsparseL28csrmmnn_general_block_reduceILj1024EllddEEvT0_PKT1_PKT3_PT2_l16rocsparse_order_.num_named_barrier, 0
	.set _ZN9rocsparseL28csrmmnn_general_block_reduceILj1024EllddEEvT0_PKT1_PKT3_PT2_l16rocsparse_order_.private_seg_size, 0
	.set _ZN9rocsparseL28csrmmnn_general_block_reduceILj1024EllddEEvT0_PKT1_PKT3_PT2_l16rocsparse_order_.uses_vcc, 1
	.set _ZN9rocsparseL28csrmmnn_general_block_reduceILj1024EllddEEvT0_PKT1_PKT3_PT2_l16rocsparse_order_.uses_flat_scratch, 0
	.set _ZN9rocsparseL28csrmmnn_general_block_reduceILj1024EllddEEvT0_PKT1_PKT3_PT2_l16rocsparse_order_.has_dyn_sized_stack, 0
	.set _ZN9rocsparseL28csrmmnn_general_block_reduceILj1024EllddEEvT0_PKT1_PKT3_PT2_l16rocsparse_order_.has_recursion, 0
	.set _ZN9rocsparseL28csrmmnn_general_block_reduceILj1024EllddEEvT0_PKT1_PKT3_PT2_l16rocsparse_order_.has_indirect_call, 0
	.section	.AMDGPU.csdata,"",@progbits
; Kernel info:
; codeLenInByte = 1872
; TotalNumSgprs: 30
; NumVgprs: 36
; ScratchSize: 0
; MemoryBound: 0
; FloatMode: 240
; IeeeMode: 1
; LDSByteSize: 16384 bytes/workgroup (compile time only)
; SGPRBlocks: 0
; VGPRBlocks: 2
; NumSGPRsForWavesPerEU: 30
; NumVGPRsForWavesPerEU: 36
; NamedBarCnt: 0
; Occupancy: 16
; WaveLimiterHint : 0
; COMPUTE_PGM_RSRC2:SCRATCH_EN: 0
; COMPUTE_PGM_RSRC2:USER_SGPR: 2
; COMPUTE_PGM_RSRC2:TRAP_HANDLER: 0
; COMPUTE_PGM_RSRC2:TGID_X_EN: 1
; COMPUTE_PGM_RSRC2:TGID_Y_EN: 0
; COMPUTE_PGM_RSRC2:TGID_Z_EN: 0
; COMPUTE_PGM_RSRC2:TIDIG_COMP_CNT: 0
	.section	.text._ZN9rocsparseL28csrmmnn_general_block_reduceILj1024Eii21rocsparse_complex_numIfES2_EEvT0_PKT1_PKT3_PT2_l16rocsparse_order_,"axG",@progbits,_ZN9rocsparseL28csrmmnn_general_block_reduceILj1024Eii21rocsparse_complex_numIfES2_EEvT0_PKT1_PKT3_PT2_l16rocsparse_order_,comdat
	.globl	_ZN9rocsparseL28csrmmnn_general_block_reduceILj1024Eii21rocsparse_complex_numIfES2_EEvT0_PKT1_PKT3_PT2_l16rocsparse_order_ ; -- Begin function _ZN9rocsparseL28csrmmnn_general_block_reduceILj1024Eii21rocsparse_complex_numIfES2_EEvT0_PKT1_PKT3_PT2_l16rocsparse_order_
	.p2align	8
	.type	_ZN9rocsparseL28csrmmnn_general_block_reduceILj1024Eii21rocsparse_complex_numIfES2_EEvT0_PKT1_PKT3_PT2_l16rocsparse_order_,@function
_ZN9rocsparseL28csrmmnn_general_block_reduceILj1024Eii21rocsparse_complex_numIfES2_EEvT0_PKT1_PKT3_PT2_l16rocsparse_order_: ; @_ZN9rocsparseL28csrmmnn_general_block_reduceILj1024Eii21rocsparse_complex_numIfES2_EEvT0_PKT1_PKT3_PT2_l16rocsparse_order_
; %bb.0:
	s_load_b32 s22, s[0:1], 0x0
	v_mov_b64_e32 v[4:5], 0
	v_dual_mov_b32 v3, -1 :: v_dual_lshlrev_b32 v2, 2, v0
	v_lshlrev_b32_e32 v1, 3, v0
	s_mov_b32 s2, exec_lo
	ds_store_b32 v2, v3 offset:8192
	ds_store_b64 v1, v[4:5]
	s_wait_dscnt 0x0
	s_barrier_signal -1
	s_barrier_wait -1
	s_wait_kmcnt 0x0
	v_cmpx_gt_i32_e64 s22, v0
	s_cbranch_execz .LBB9_51
; %bb.1:
	s_clause 0x1
	s_load_b32 s10, s[0:1], 0x28
	s_load_b256 s[12:19], s[0:1], 0x8
	s_bfe_u32 s2, ttmp6, 0x4000c
	s_and_b32 s3, ttmp6, 15
	s_add_co_i32 s2, s2, 1
	s_getreg_b32 s4, hwreg(HW_REG_IB_STS2, 6, 4)
	s_mul_i32 s2, ttmp9, s2
	v_or_b32_e32 v8, 0x2000, v2
	s_add_co_i32 s3, s3, s2
	s_cmp_eq_u32 s4, 0
	s_wait_xcnt 0x0
	v_cmp_ne_u32_e64 s0, 0, v0
	s_cselect_b32 s20, ttmp9, s3
	v_dual_add_nc_u32 v9, -4, v8 :: v_dual_add_nc_u32 v10, -8, v1
	s_mul_i32 s24, s22, s20
	v_cmp_lt_u32_e64 s1, 1, v0
	v_dual_add_nc_u32 v11, -8, v8 :: v_dual_add_nc_u32 v12, -16, v1
	v_cmp_lt_u32_e64 s2, 3, v0
	v_dual_add_nc_u32 v13, -16, v8 :: v_dual_mov_b32 v3, 0
	s_wait_kmcnt 0x0
	s_cmp_lg_u32 s10, 1
	v_subrev_nc_u32_e32 v14, 32, v1
	s_cselect_b32 s25, -1, 0
	s_ashr_i32 s21, s20, 31
	v_cmp_lt_u32_e64 s3, 7, v0
	s_lshl_b64 s[26:27], s[20:21], 3
	s_mul_u64 s[20:21], s[18:19], s[20:21]
	v_subrev_nc_u32_e32 v15, 32, v8
	v_subrev_nc_u32_e32 v16, 64, v1
	v_cmp_lt_u32_e64 s4, 15, v0
	v_subrev_nc_u32_e32 v17, 64, v8
	v_add_nc_u32_e32 v18, 0xffffff80, v1
	v_cmp_lt_u32_e64 s5, 31, v0
	v_add_nc_u32_e32 v19, 0xffffff80, v8
	v_add_nc_u32_e32 v20, 0xffffff00, v1
	v_cmp_lt_u32_e64 s6, 63, v0
	v_add_nc_u32_e32 v21, 0xffffff00, v8
	v_add_nc_u32_e32 v22, 0xfffffe00, v1
	v_cmp_lt_u32_e64 s7, 0x7f, v0
	v_add_nc_u32_e32 v23, 0xfffffe00, v8
	v_add_nc_u32_e32 v24, 0xfffffc00, v1
	v_cmp_lt_u32_e64 s8, 0xff, v0
	v_add_nc_u32_e32 v25, 0xfffffc00, v8
	v_add_nc_u32_e32 v26, 0xfffff800, v1
	v_cmp_lt_u32_e64 s9, 0x1ff, v0
	v_add_nc_u32_e32 v27, 0xfffff800, v8
	v_add_nc_u32_e32 v28, 0xfffff000, v1
	v_cmp_ne_u32_e64 s10, 0x3ff, v0
	s_lshl_b64 s[28:29], s[20:21], 3
	s_mov_b32 s23, 0
	s_add_nc_u64 s[20:21], s[16:17], s[26:27]
	s_add_nc_u64 s[16:17], s[16:17], s[28:29]
	s_branch .LBB9_4
.LBB9_2:                                ;   in Loop: Header=BB9_4 Depth=1
	global_store_b32 v[4:5], v6, off offset:4
.LBB9_3:                                ;   in Loop: Header=BB9_4 Depth=1
	s_wait_xcnt 0x0
	s_or_b32 exec_lo, exec_lo, s11
	v_add_nc_u32_e32 v0, 0x400, v0
	s_wait_storecnt 0x0
	s_barrier_signal -1
	s_barrier_wait -1
	s_delay_alu instid0(VALU_DEP_1) | instskip(SKIP_1) | instid1(SALU_CYCLE_1)
	v_cmp_le_i32_e32 vcc_lo, s22, v0
	s_or_b32 s23, vcc_lo, s23
	s_and_not1_b32 exec_lo, exec_lo, s23
	s_cbranch_execz .LBB9_51
.LBB9_4:                                ; =>This Inner Loop Header: Depth=1
	v_dual_add_nc_u32 v2, s24, v0 :: v_dual_mov_b32 v4, 0
	v_mov_b32_e32 v5, 0
	global_load_b32 v29, v0, s[12:13] scale_offset
	global_load_b64 v[6:7], v2, s[14:15] scale_offset
	s_wait_loadcnt 0x1
	ds_store_b32 v8, v29
	s_wait_loadcnt 0x0
	ds_store_b64 v1, v[6:7]
	s_wait_dscnt 0x0
	s_barrier_signal -1
	s_barrier_wait -1
	s_and_saveexec_b32 s11, s0
	s_cbranch_execz .LBB9_8
; %bb.5:                                ;   in Loop: Header=BB9_4 Depth=1
	ds_load_2addr_b32 v[6:7], v9 offset1:1
	v_dual_mov_b32 v5, 0 :: v_dual_mov_b32 v4, 0
	s_mov_b32 s26, exec_lo
	s_wait_dscnt 0x0
	v_cmpx_eq_u32_e64 v7, v6
; %bb.6:                                ;   in Loop: Header=BB9_4 Depth=1
	ds_load_b64 v[4:5], v10
; %bb.7:                                ;   in Loop: Header=BB9_4 Depth=1
	s_or_b32 exec_lo, exec_lo, s26
.LBB9_8:                                ;   in Loop: Header=BB9_4 Depth=1
	s_delay_alu instid0(SALU_CYCLE_1)
	s_or_b32 exec_lo, exec_lo, s11
	s_wait_dscnt 0x0
	s_barrier_signal -1
	s_barrier_wait -1
	ds_load_b64 v[6:7], v1
	s_wait_dscnt 0x0
	v_pk_add_f32 v[30:31], v[4:5], v[6:7]
	v_dual_mov_b32 v4, 0 :: v_dual_mov_b32 v6, 0
	v_mov_b32_e32 v7, 0
	ds_store_b64 v1, v[30:31]
	s_wait_dscnt 0x0
	s_barrier_signal -1
	s_barrier_wait -1
	s_and_saveexec_b32 s11, s1
	s_cbranch_execz .LBB9_12
; %bb.9:                                ;   in Loop: Header=BB9_4 Depth=1
	ds_load_b32 v2, v8
	ds_load_b32 v5, v11
	v_dual_mov_b32 v7, 0 :: v_dual_mov_b32 v6, 0
	s_mov_b32 s26, exec_lo
	s_wait_dscnt 0x0
	v_cmpx_eq_u32_e64 v2, v5
; %bb.10:                               ;   in Loop: Header=BB9_4 Depth=1
	ds_load_b64 v[6:7], v12
; %bb.11:                               ;   in Loop: Header=BB9_4 Depth=1
	s_or_b32 exec_lo, exec_lo, s26
.LBB9_12:                               ;   in Loop: Header=BB9_4 Depth=1
	s_delay_alu instid0(SALU_CYCLE_1)
	s_or_b32 exec_lo, exec_lo, s11
	s_wait_dscnt 0x0
	s_barrier_signal -1
	s_barrier_wait -1
	ds_load_b64 v[30:31], v1
	v_mov_b32_e32 v5, 0
	s_wait_dscnt 0x0
	v_pk_add_f32 v[6:7], v[6:7], v[30:31]
	ds_store_b64 v1, v[6:7]
	s_wait_dscnt 0x0
	s_barrier_signal -1
	s_barrier_wait -1
	s_and_saveexec_b32 s11, s2
	s_cbranch_execz .LBB9_16
; %bb.13:                               ;   in Loop: Header=BB9_4 Depth=1
	ds_load_b32 v2, v8
	ds_load_b32 v4, v13
	v_mov_b32_e32 v5, 0
	s_wait_dscnt 0x0
	v_cmp_eq_u32_e32 vcc_lo, v2, v4
	v_mov_b32_e32 v4, 0
	s_and_saveexec_b32 s26, vcc_lo
; %bb.14:                               ;   in Loop: Header=BB9_4 Depth=1
	ds_load_b64 v[4:5], v14
; %bb.15:                               ;   in Loop: Header=BB9_4 Depth=1
	s_or_b32 exec_lo, exec_lo, s26
.LBB9_16:                               ;   in Loop: Header=BB9_4 Depth=1
	s_delay_alu instid0(SALU_CYCLE_1)
	s_or_b32 exec_lo, exec_lo, s11
	s_wait_dscnt 0x0
	s_barrier_signal -1
	s_barrier_wait -1
	ds_load_b64 v[6:7], v1
	s_wait_dscnt 0x0
	v_pk_add_f32 v[30:31], v[4:5], v[6:7]
	v_dual_mov_b32 v4, 0 :: v_dual_mov_b32 v6, 0
	v_mov_b32_e32 v7, 0
	ds_store_b64 v1, v[30:31]
	s_wait_dscnt 0x0
	s_barrier_signal -1
	s_barrier_wait -1
	s_and_saveexec_b32 s11, s3
	s_cbranch_execz .LBB9_20
; %bb.17:                               ;   in Loop: Header=BB9_4 Depth=1
	ds_load_b32 v2, v8
	ds_load_b32 v5, v15
	v_dual_mov_b32 v7, 0 :: v_dual_mov_b32 v6, 0
	s_mov_b32 s26, exec_lo
	s_wait_dscnt 0x0
	v_cmpx_eq_u32_e64 v2, v5
; %bb.18:                               ;   in Loop: Header=BB9_4 Depth=1
	ds_load_b64 v[6:7], v16
; %bb.19:                               ;   in Loop: Header=BB9_4 Depth=1
	s_or_b32 exec_lo, exec_lo, s26
.LBB9_20:                               ;   in Loop: Header=BB9_4 Depth=1
	s_delay_alu instid0(SALU_CYCLE_1)
	s_or_b32 exec_lo, exec_lo, s11
	s_wait_dscnt 0x0
	s_barrier_signal -1
	s_barrier_wait -1
	ds_load_b64 v[30:31], v1
	v_mov_b32_e32 v5, 0
	s_wait_dscnt 0x0
	v_pk_add_f32 v[6:7], v[6:7], v[30:31]
	ds_store_b64 v1, v[6:7]
	s_wait_dscnt 0x0
	s_barrier_signal -1
	s_barrier_wait -1
	s_and_saveexec_b32 s11, s4
	s_cbranch_execz .LBB9_24
; %bb.21:                               ;   in Loop: Header=BB9_4 Depth=1
	ds_load_b32 v2, v8
	ds_load_b32 v4, v17
	v_mov_b32_e32 v5, 0
	s_wait_dscnt 0x0
	v_cmp_eq_u32_e32 vcc_lo, v2, v4
	v_mov_b32_e32 v4, 0
	s_and_saveexec_b32 s26, vcc_lo
; %bb.22:                               ;   in Loop: Header=BB9_4 Depth=1
	ds_load_b64 v[4:5], v18
; %bb.23:                               ;   in Loop: Header=BB9_4 Depth=1
	s_or_b32 exec_lo, exec_lo, s26
.LBB9_24:                               ;   in Loop: Header=BB9_4 Depth=1
	s_delay_alu instid0(SALU_CYCLE_1)
	s_or_b32 exec_lo, exec_lo, s11
	s_wait_dscnt 0x0
	s_barrier_signal -1
	s_barrier_wait -1
	ds_load_b64 v[6:7], v1
	s_wait_dscnt 0x0
	v_pk_add_f32 v[30:31], v[4:5], v[6:7]
	v_dual_mov_b32 v4, 0 :: v_dual_mov_b32 v6, 0
	v_mov_b32_e32 v7, 0
	ds_store_b64 v1, v[30:31]
	s_wait_dscnt 0x0
	s_barrier_signal -1
	s_barrier_wait -1
	s_and_saveexec_b32 s11, s5
	s_cbranch_execz .LBB9_28
; %bb.25:                               ;   in Loop: Header=BB9_4 Depth=1
	ds_load_b32 v2, v8
	ds_load_b32 v5, v19
	v_dual_mov_b32 v7, 0 :: v_dual_mov_b32 v6, 0
	s_mov_b32 s26, exec_lo
	s_wait_dscnt 0x0
	v_cmpx_eq_u32_e64 v2, v5
; %bb.26:                               ;   in Loop: Header=BB9_4 Depth=1
	ds_load_b64 v[6:7], v20
; %bb.27:                               ;   in Loop: Header=BB9_4 Depth=1
	s_or_b32 exec_lo, exec_lo, s26
.LBB9_28:                               ;   in Loop: Header=BB9_4 Depth=1
	;; [unrolled: 56-line block ×3, first 2 shown]
	s_delay_alu instid0(SALU_CYCLE_1)
	s_or_b32 exec_lo, exec_lo, s11
	s_wait_dscnt 0x0
	s_barrier_signal -1
	s_barrier_wait -1
	ds_load_b64 v[30:31], v1
	v_mov_b32_e32 v5, 0
	s_wait_dscnt 0x0
	v_pk_add_f32 v[6:7], v[6:7], v[30:31]
	ds_store_b64 v1, v[6:7]
	s_wait_dscnt 0x0
	s_barrier_signal -1
	s_barrier_wait -1
	s_and_saveexec_b32 s11, s8
	s_cbranch_execz .LBB9_40
; %bb.37:                               ;   in Loop: Header=BB9_4 Depth=1
	ds_load_b32 v2, v8
	ds_load_b32 v4, v25
	v_mov_b32_e32 v5, 0
	s_wait_dscnt 0x0
	v_cmp_eq_u32_e32 vcc_lo, v2, v4
	v_mov_b32_e32 v4, 0
	s_and_saveexec_b32 s26, vcc_lo
; %bb.38:                               ;   in Loop: Header=BB9_4 Depth=1
	ds_load_b64 v[4:5], v26
; %bb.39:                               ;   in Loop: Header=BB9_4 Depth=1
	s_or_b32 exec_lo, exec_lo, s26
.LBB9_40:                               ;   in Loop: Header=BB9_4 Depth=1
	s_delay_alu instid0(SALU_CYCLE_1)
	s_or_b32 exec_lo, exec_lo, s11
	s_wait_dscnt 0x0
	s_barrier_signal -1
	s_barrier_wait -1
	ds_load_b64 v[6:7], v1
	s_wait_dscnt 0x0
	v_pk_add_f32 v[6:7], v[4:5], v[6:7]
	v_dual_mov_b32 v4, 0 :: v_dual_mov_b32 v5, 0
	ds_store_b64 v1, v[6:7]
	s_wait_dscnt 0x0
	s_barrier_signal -1
	s_barrier_wait -1
	s_and_saveexec_b32 s11, s9
	s_cbranch_execz .LBB9_44
; %bb.41:                               ;   in Loop: Header=BB9_4 Depth=1
	ds_load_b32 v2, v8
	ds_load_b32 v4, v27
	v_mov_b32_e32 v5, 0
	s_wait_dscnt 0x0
	v_cmp_eq_u32_e32 vcc_lo, v2, v4
	v_mov_b32_e32 v4, 0
	s_and_saveexec_b32 s26, vcc_lo
; %bb.42:                               ;   in Loop: Header=BB9_4 Depth=1
	ds_load_b64 v[4:5], v28
; %bb.43:                               ;   in Loop: Header=BB9_4 Depth=1
	s_or_b32 exec_lo, exec_lo, s26
.LBB9_44:                               ;   in Loop: Header=BB9_4 Depth=1
	s_delay_alu instid0(SALU_CYCLE_1)
	s_or_b32 exec_lo, exec_lo, s11
	s_wait_dscnt 0x0
	s_barrier_signal -1
	s_barrier_wait -1
	ds_load_b64 v[6:7], v1
	s_wait_dscnt 0x0
	v_pk_add_f32 v[4:5], v[4:5], v[6:7]
	ds_store_b64 v1, v[4:5]
	s_wait_dscnt 0x0
	s_barrier_signal -1
	s_barrier_wait -1
	ds_load_b32 v2, v8
	v_mov_b32_e32 v4, -1
	s_and_saveexec_b32 s11, s10
; %bb.45:                               ;   in Loop: Header=BB9_4 Depth=1
	ds_load_b32 v4, v8 offset:4
; %bb.46:                               ;   in Loop: Header=BB9_4 Depth=1
	s_or_b32 exec_lo, exec_lo, s11
	s_wait_dscnt 0x0
	v_cmp_ne_u32_e32 vcc_lo, v2, v4
	v_cmp_lt_i32_e64 s11, -1, v2
	s_and_b32 s26, s11, vcc_lo
	s_delay_alu instid0(SALU_CYCLE_1)
	s_and_saveexec_b32 s11, s26
	s_cbranch_execz .LBB9_3
; %bb.47:                               ;   in Loop: Header=BB9_4 Depth=1
	s_and_b32 vcc_lo, exec_lo, s25
	s_mov_b32 s26, -1
                                        ; implicit-def: $vgpr6
                                        ; implicit-def: $vgpr4_vgpr5
	s_cbranch_vccz .LBB9_49
; %bb.48:                               ;   in Loop: Header=BB9_4 Depth=1
	v_mul_u64_e32 v[4:5], s[18:19], v[2:3]
	ds_load_b64 v[30:31], v1
	s_mov_b32 s26, 0
	v_lshl_add_u64 v[4:5], v[4:5], 3, s[20:21]
	global_load_b64 v[6:7], v[4:5], off
	s_wait_loadcnt_dscnt 0x0
	v_dual_add_f32 v29, v30, v6 :: v_dual_add_f32 v6, v31, v7
	global_store_b32 v[4:5], v29, off
.LBB9_49:                               ;   in Loop: Header=BB9_4 Depth=1
	s_and_not1_b32 vcc_lo, exec_lo, s26
	s_cbranch_vccnz .LBB9_2
; %bb.50:                               ;   in Loop: Header=BB9_4 Depth=1
	s_wait_xcnt 0x0
	v_lshl_add_u64 v[4:5], v[2:3], 3, s[16:17]
	ds_load_b64 v[30:31], v1
	global_load_b64 v[6:7], v[4:5], off
	s_wait_loadcnt_dscnt 0x0
	v_dual_add_f32 v2, v30, v6 :: v_dual_add_f32 v6, v31, v7
	global_store_b32 v[4:5], v2, off
	s_branch .LBB9_2
.LBB9_51:
	s_endpgm
	.section	.rodata,"a",@progbits
	.p2align	6, 0x0
	.amdhsa_kernel _ZN9rocsparseL28csrmmnn_general_block_reduceILj1024Eii21rocsparse_complex_numIfES2_EEvT0_PKT1_PKT3_PT2_l16rocsparse_order_
		.amdhsa_group_segment_fixed_size 12288
		.amdhsa_private_segment_fixed_size 0
		.amdhsa_kernarg_size 44
		.amdhsa_user_sgpr_count 2
		.amdhsa_user_sgpr_dispatch_ptr 0
		.amdhsa_user_sgpr_queue_ptr 0
		.amdhsa_user_sgpr_kernarg_segment_ptr 1
		.amdhsa_user_sgpr_dispatch_id 0
		.amdhsa_user_sgpr_kernarg_preload_length 0
		.amdhsa_user_sgpr_kernarg_preload_offset 0
		.amdhsa_user_sgpr_private_segment_size 0
		.amdhsa_wavefront_size32 1
		.amdhsa_uses_dynamic_stack 0
		.amdhsa_enable_private_segment 0
		.amdhsa_system_sgpr_workgroup_id_x 1
		.amdhsa_system_sgpr_workgroup_id_y 0
		.amdhsa_system_sgpr_workgroup_id_z 0
		.amdhsa_system_sgpr_workgroup_info 0
		.amdhsa_system_vgpr_workitem_id 0
		.amdhsa_next_free_vgpr 32
		.amdhsa_next_free_sgpr 30
		.amdhsa_named_barrier_count 0
		.amdhsa_reserve_vcc 1
		.amdhsa_float_round_mode_32 0
		.amdhsa_float_round_mode_16_64 0
		.amdhsa_float_denorm_mode_32 3
		.amdhsa_float_denorm_mode_16_64 3
		.amdhsa_fp16_overflow 0
		.amdhsa_memory_ordered 1
		.amdhsa_forward_progress 1
		.amdhsa_inst_pref_size 16
		.amdhsa_round_robin_scheduling 0
		.amdhsa_exception_fp_ieee_invalid_op 0
		.amdhsa_exception_fp_denorm_src 0
		.amdhsa_exception_fp_ieee_div_zero 0
		.amdhsa_exception_fp_ieee_overflow 0
		.amdhsa_exception_fp_ieee_underflow 0
		.amdhsa_exception_fp_ieee_inexact 0
		.amdhsa_exception_int_div_zero 0
	.end_amdhsa_kernel
	.section	.text._ZN9rocsparseL28csrmmnn_general_block_reduceILj1024Eii21rocsparse_complex_numIfES2_EEvT0_PKT1_PKT3_PT2_l16rocsparse_order_,"axG",@progbits,_ZN9rocsparseL28csrmmnn_general_block_reduceILj1024Eii21rocsparse_complex_numIfES2_EEvT0_PKT1_PKT3_PT2_l16rocsparse_order_,comdat
.Lfunc_end9:
	.size	_ZN9rocsparseL28csrmmnn_general_block_reduceILj1024Eii21rocsparse_complex_numIfES2_EEvT0_PKT1_PKT3_PT2_l16rocsparse_order_, .Lfunc_end9-_ZN9rocsparseL28csrmmnn_general_block_reduceILj1024Eii21rocsparse_complex_numIfES2_EEvT0_PKT1_PKT3_PT2_l16rocsparse_order_
                                        ; -- End function
	.set _ZN9rocsparseL28csrmmnn_general_block_reduceILj1024Eii21rocsparse_complex_numIfES2_EEvT0_PKT1_PKT3_PT2_l16rocsparse_order_.num_vgpr, 32
	.set _ZN9rocsparseL28csrmmnn_general_block_reduceILj1024Eii21rocsparse_complex_numIfES2_EEvT0_PKT1_PKT3_PT2_l16rocsparse_order_.num_agpr, 0
	.set _ZN9rocsparseL28csrmmnn_general_block_reduceILj1024Eii21rocsparse_complex_numIfES2_EEvT0_PKT1_PKT3_PT2_l16rocsparse_order_.numbered_sgpr, 30
	.set _ZN9rocsparseL28csrmmnn_general_block_reduceILj1024Eii21rocsparse_complex_numIfES2_EEvT0_PKT1_PKT3_PT2_l16rocsparse_order_.num_named_barrier, 0
	.set _ZN9rocsparseL28csrmmnn_general_block_reduceILj1024Eii21rocsparse_complex_numIfES2_EEvT0_PKT1_PKT3_PT2_l16rocsparse_order_.private_seg_size, 0
	.set _ZN9rocsparseL28csrmmnn_general_block_reduceILj1024Eii21rocsparse_complex_numIfES2_EEvT0_PKT1_PKT3_PT2_l16rocsparse_order_.uses_vcc, 1
	.set _ZN9rocsparseL28csrmmnn_general_block_reduceILj1024Eii21rocsparse_complex_numIfES2_EEvT0_PKT1_PKT3_PT2_l16rocsparse_order_.uses_flat_scratch, 0
	.set _ZN9rocsparseL28csrmmnn_general_block_reduceILj1024Eii21rocsparse_complex_numIfES2_EEvT0_PKT1_PKT3_PT2_l16rocsparse_order_.has_dyn_sized_stack, 0
	.set _ZN9rocsparseL28csrmmnn_general_block_reduceILj1024Eii21rocsparse_complex_numIfES2_EEvT0_PKT1_PKT3_PT2_l16rocsparse_order_.has_recursion, 0
	.set _ZN9rocsparseL28csrmmnn_general_block_reduceILj1024Eii21rocsparse_complex_numIfES2_EEvT0_PKT1_PKT3_PT2_l16rocsparse_order_.has_indirect_call, 0
	.section	.AMDGPU.csdata,"",@progbits
; Kernel info:
; codeLenInByte = 2036
; TotalNumSgprs: 32
; NumVgprs: 32
; ScratchSize: 0
; MemoryBound: 0
; FloatMode: 240
; IeeeMode: 1
; LDSByteSize: 12288 bytes/workgroup (compile time only)
; SGPRBlocks: 0
; VGPRBlocks: 1
; NumSGPRsForWavesPerEU: 32
; NumVGPRsForWavesPerEU: 32
; NamedBarCnt: 0
; Occupancy: 16
; WaveLimiterHint : 0
; COMPUTE_PGM_RSRC2:SCRATCH_EN: 0
; COMPUTE_PGM_RSRC2:USER_SGPR: 2
; COMPUTE_PGM_RSRC2:TRAP_HANDLER: 0
; COMPUTE_PGM_RSRC2:TGID_X_EN: 1
; COMPUTE_PGM_RSRC2:TGID_Y_EN: 0
; COMPUTE_PGM_RSRC2:TGID_Z_EN: 0
; COMPUTE_PGM_RSRC2:TIDIG_COMP_CNT: 0
	.section	.text._ZN9rocsparseL28csrmmnn_general_block_reduceILj1024Eli21rocsparse_complex_numIfES2_EEvT0_PKT1_PKT3_PT2_l16rocsparse_order_,"axG",@progbits,_ZN9rocsparseL28csrmmnn_general_block_reduceILj1024Eli21rocsparse_complex_numIfES2_EEvT0_PKT1_PKT3_PT2_l16rocsparse_order_,comdat
	.globl	_ZN9rocsparseL28csrmmnn_general_block_reduceILj1024Eli21rocsparse_complex_numIfES2_EEvT0_PKT1_PKT3_PT2_l16rocsparse_order_ ; -- Begin function _ZN9rocsparseL28csrmmnn_general_block_reduceILj1024Eli21rocsparse_complex_numIfES2_EEvT0_PKT1_PKT3_PT2_l16rocsparse_order_
	.p2align	8
	.type	_ZN9rocsparseL28csrmmnn_general_block_reduceILj1024Eli21rocsparse_complex_numIfES2_EEvT0_PKT1_PKT3_PT2_l16rocsparse_order_,@function
_ZN9rocsparseL28csrmmnn_general_block_reduceILj1024Eli21rocsparse_complex_numIfES2_EEvT0_PKT1_PKT3_PT2_l16rocsparse_order_: ; @_ZN9rocsparseL28csrmmnn_general_block_reduceILj1024Eli21rocsparse_complex_numIfES2_EEvT0_PKT1_PKT3_PT2_l16rocsparse_order_
; %bb.0:
	s_load_b64 s[20:21], s[0:1], 0x0
	v_mov_b64_e32 v[2:3], -1
	v_mov_b64_e32 v[4:5], 0
	v_dual_mov_b32 v1, 0 :: v_dual_lshlrev_b32 v10, 3, v0
	s_mov_b32 s2, exec_lo
	ds_store_2addr_stride64_b64 v10, v[2:3], v[4:5] offset1:16
	s_wait_dscnt 0x0
	s_barrier_signal -1
	s_barrier_wait -1
	s_wait_kmcnt 0x0
	v_cmpx_gt_i64_e64 s[20:21], v[0:1]
	s_cbranch_execz .LBB10_51
; %bb.1:
	s_clause 0x1
	s_load_b32 s10, s[0:1], 0x28
	s_load_b256 s[12:19], s[0:1], 0x8
	s_bfe_u32 s2, ttmp6, 0x4000c
	s_and_b32 s3, ttmp6, 15
	s_add_co_i32 s2, s2, 1
	s_getreg_b32 s4, hwreg(HW_REG_IB_STS2, 6, 4)
	s_mul_i32 s2, ttmp9, s2
	s_mov_b32 s23, 0
	s_add_co_i32 s3, s3, s2
	s_cmp_eq_u32 s4, 0
	v_dual_mov_b32 v3, v1 :: v_dual_add_nc_u32 v20, 0xffffff80, v10
	s_cselect_b32 s22, ttmp9, s3
	v_dual_mov_b32 v5, v1 :: v_dual_add_nc_u32 v22, 0xffffff00, v10
	s_lshl_b64 s[26:27], s[22:23], 3
	v_dual_lshlrev_b32 v2, 3, v0 :: v_dual_lshlrev_b32 v4, 2, v0
	v_or_b32_e32 v11, 0x2000, v10
	s_wait_xcnt 0x0
	v_cmp_ne_u32_e64 s0, 0, v0
	s_wait_kmcnt 0x0
	s_cmp_lg_u32 s10, 1
	s_mul_u64 s[10:11], s[20:21], s[22:23]
	s_cselect_b32 s24, -1, 0
	s_lshl_b64 s[10:11], s[10:11], 3
	v_add_nc_u64_e32 v[4:5], s[12:13], v[4:5]
	s_add_nc_u64 s[10:11], s[14:15], s[10:11]
	s_mul_u64 s[12:13], s[18:19], s[22:23]
	v_add_nc_u64_e32 v[2:3], s[10:11], v[2:3]
	v_dual_add_nc_u32 v12, -8, v10 :: v_dual_add_nc_u32 v13, -8, v11
	v_cmp_lt_u32_e64 s1, 1, v0
	v_dual_add_nc_u32 v14, -16, v10 :: v_dual_add_nc_u32 v15, -16, v11
	v_cmp_lt_u32_e64 s2, 3, v0
	v_subrev_nc_u32_e32 v16, 32, v10
	v_subrev_nc_u32_e32 v17, 32, v11
	v_cmp_lt_u32_e64 s3, 7, v0
	v_subrev_nc_u32_e32 v18, 64, v10
	v_subrev_nc_u32_e32 v19, 64, v11
	v_cmp_lt_u32_e64 s4, 15, v0
	v_add_nc_u32_e32 v21, 0xffffff80, v11
	v_cmp_lt_u32_e64 s5, 31, v0
	v_add_nc_u32_e32 v23, 0xffffff00, v11
	;; [unrolled: 2-line block ×3, first 2 shown]
	v_add_nc_u32_e32 v25, 0xfffffe00, v11
	v_cmp_lt_u32_e64 s7, 0x7f, v0
	v_add_nc_u32_e32 v26, 0xfffffc00, v10
	v_add_nc_u32_e32 v27, 0xfffffc00, v11
	v_cmp_lt_u32_e64 s8, 0xff, v0
	v_add_nc_u32_e32 v28, 0xfffff800, v10
	;; [unrolled: 3-line block ×3, first 2 shown]
	v_add_nc_u32_e32 v31, 0xfffff000, v11
	v_cmp_ne_u32_e64 s10, 0x3ff, v0
	s_lshl_b64 s[14:15], s[12:13], 3
	s_add_nc_u64 s[12:13], s[16:17], s[26:27]
	s_add_nc_u64 s[14:15], s[16:17], s[14:15]
	s_branch .LBB10_4
.LBB10_2:                               ;   in Loop: Header=BB10_4 Depth=1
	global_store_b32 v[8:9], v32, off offset:4
.LBB10_3:                               ;   in Loop: Header=BB10_4 Depth=1
	s_wait_xcnt 0x0
	s_or_b32 exec_lo, exec_lo, s11
	v_add_nc_u64_e32 v[0:1], 0x400, v[0:1]
	v_add_nc_u64_e32 v[2:3], 0x2000, v[2:3]
	;; [unrolled: 1-line block ×3, first 2 shown]
	s_wait_storecnt 0x0
	s_barrier_signal -1
	s_barrier_wait -1
	s_delay_alu instid0(VALU_DEP_3) | instskip(SKIP_1) | instid1(SALU_CYCLE_1)
	v_cmp_le_i64_e32 vcc_lo, s[20:21], v[0:1]
	s_or_b32 s23, vcc_lo, s23
	s_and_not1_b32 exec_lo, exec_lo, s23
	s_cbranch_execz .LBB10_51
.LBB10_4:                               ; =>This Inner Loop Header: Depth=1
	global_load_b32 v32, v[4:5], off
	global_load_b64 v[34:35], v[2:3], off
	v_dual_mov_b32 v8, 0 :: v_dual_mov_b32 v9, 0
	s_wait_loadcnt 0x1
	v_dual_mov_b32 v6, 0 :: v_dual_ashrrev_i32 v33, 31, v32
	ds_store_b64 v10, v[32:33]
	s_wait_loadcnt 0x0
	ds_store_b64 v11, v[34:35]
	s_wait_dscnt 0x0
	s_barrier_signal -1
	s_barrier_wait -1
	s_and_saveexec_b32 s11, s0
	s_cbranch_execz .LBB10_8
; %bb.5:                                ;   in Loop: Header=BB10_4 Depth=1
	ds_load_2addr_b64 v[32:35], v12 offset1:1
	v_dual_mov_b32 v9, 0 :: v_dual_mov_b32 v8, 0
	s_mov_b32 s16, exec_lo
	s_wait_dscnt 0x0
	v_cmpx_eq_u64_e64 v[34:35], v[32:33]
; %bb.6:                                ;   in Loop: Header=BB10_4 Depth=1
	ds_load_b64 v[8:9], v13
; %bb.7:                                ;   in Loop: Header=BB10_4 Depth=1
	s_or_b32 exec_lo, exec_lo, s16
.LBB10_8:                               ;   in Loop: Header=BB10_4 Depth=1
	s_delay_alu instid0(SALU_CYCLE_1)
	s_or_b32 exec_lo, exec_lo, s11
	s_wait_dscnt 0x0
	s_barrier_signal -1
	s_barrier_wait -1
	ds_load_b64 v[32:33], v11
	v_mov_b32_e32 v7, 0
	s_wait_dscnt 0x0
	v_pk_add_f32 v[8:9], v[8:9], v[32:33]
	ds_store_b64 v11, v[8:9]
	s_wait_dscnt 0x0
	s_barrier_signal -1
	s_barrier_wait -1
	s_and_saveexec_b32 s11, s1
	s_cbranch_execz .LBB10_12
; %bb.9:                                ;   in Loop: Header=BB10_4 Depth=1
	ds_load_b64 v[6:7], v10
	ds_load_b64 v[8:9], v14
	s_wait_dscnt 0x0
	v_cmp_eq_u64_e32 vcc_lo, v[6:7], v[8:9]
	v_dual_mov_b32 v7, 0 :: v_dual_mov_b32 v6, 0
	s_and_saveexec_b32 s16, vcc_lo
; %bb.10:                               ;   in Loop: Header=BB10_4 Depth=1
	ds_load_b64 v[6:7], v15
; %bb.11:                               ;   in Loop: Header=BB10_4 Depth=1
	s_or_b32 exec_lo, exec_lo, s16
.LBB10_12:                              ;   in Loop: Header=BB10_4 Depth=1
	s_delay_alu instid0(SALU_CYCLE_1)
	s_or_b32 exec_lo, exec_lo, s11
	s_wait_dscnt 0x0
	s_barrier_signal -1
	s_barrier_wait -1
	ds_load_b64 v[8:9], v11
	s_wait_dscnt 0x0
	v_pk_add_f32 v[32:33], v[6:7], v[8:9]
	v_dual_mov_b32 v6, 0 :: v_dual_mov_b32 v8, 0
	v_mov_b32_e32 v9, 0
	ds_store_b64 v11, v[32:33]
	s_wait_dscnt 0x0
	s_barrier_signal -1
	s_barrier_wait -1
	s_and_saveexec_b32 s11, s2
	s_cbranch_execz .LBB10_16
; %bb.13:                               ;   in Loop: Header=BB10_4 Depth=1
	ds_load_b64 v[8:9], v10
	ds_load_b64 v[32:33], v16
	s_wait_dscnt 0x0
	v_cmp_eq_u64_e32 vcc_lo, v[8:9], v[32:33]
	v_dual_mov_b32 v9, 0 :: v_dual_mov_b32 v8, 0
	s_and_saveexec_b32 s16, vcc_lo
; %bb.14:                               ;   in Loop: Header=BB10_4 Depth=1
	ds_load_b64 v[8:9], v17
; %bb.15:                               ;   in Loop: Header=BB10_4 Depth=1
	s_or_b32 exec_lo, exec_lo, s16
.LBB10_16:                              ;   in Loop: Header=BB10_4 Depth=1
	s_delay_alu instid0(SALU_CYCLE_1)
	s_or_b32 exec_lo, exec_lo, s11
	s_wait_dscnt 0x0
	s_barrier_signal -1
	s_barrier_wait -1
	ds_load_b64 v[32:33], v11
	v_mov_b32_e32 v7, 0
	s_wait_dscnt 0x0
	v_pk_add_f32 v[8:9], v[8:9], v[32:33]
	ds_store_b64 v11, v[8:9]
	s_wait_dscnt 0x0
	s_barrier_signal -1
	s_barrier_wait -1
	s_and_saveexec_b32 s11, s3
	s_cbranch_execz .LBB10_20
; %bb.17:                               ;   in Loop: Header=BB10_4 Depth=1
	ds_load_b64 v[6:7], v10
	ds_load_b64 v[8:9], v18
	s_wait_dscnt 0x0
	v_cmp_eq_u64_e32 vcc_lo, v[6:7], v[8:9]
	v_dual_mov_b32 v7, 0 :: v_dual_mov_b32 v6, 0
	s_and_saveexec_b32 s16, vcc_lo
; %bb.18:                               ;   in Loop: Header=BB10_4 Depth=1
	ds_load_b64 v[6:7], v19
; %bb.19:                               ;   in Loop: Header=BB10_4 Depth=1
	s_or_b32 exec_lo, exec_lo, s16
.LBB10_20:                              ;   in Loop: Header=BB10_4 Depth=1
	s_delay_alu instid0(SALU_CYCLE_1)
	s_or_b32 exec_lo, exec_lo, s11
	s_wait_dscnt 0x0
	s_barrier_signal -1
	s_barrier_wait -1
	ds_load_b64 v[8:9], v11
	s_wait_dscnt 0x0
	v_pk_add_f32 v[32:33], v[6:7], v[8:9]
	v_dual_mov_b32 v6, 0 :: v_dual_mov_b32 v8, 0
	v_mov_b32_e32 v9, 0
	ds_store_b64 v11, v[32:33]
	s_wait_dscnt 0x0
	s_barrier_signal -1
	s_barrier_wait -1
	s_and_saveexec_b32 s11, s4
	s_cbranch_execz .LBB10_24
; %bb.21:                               ;   in Loop: Header=BB10_4 Depth=1
	ds_load_b64 v[8:9], v10
	ds_load_b64 v[32:33], v20
	s_wait_dscnt 0x0
	v_cmp_eq_u64_e32 vcc_lo, v[8:9], v[32:33]
	v_dual_mov_b32 v9, 0 :: v_dual_mov_b32 v8, 0
	s_and_saveexec_b32 s16, vcc_lo
; %bb.22:                               ;   in Loop: Header=BB10_4 Depth=1
	ds_load_b64 v[8:9], v21
; %bb.23:                               ;   in Loop: Header=BB10_4 Depth=1
	s_or_b32 exec_lo, exec_lo, s16
.LBB10_24:                              ;   in Loop: Header=BB10_4 Depth=1
	s_delay_alu instid0(SALU_CYCLE_1)
	s_or_b32 exec_lo, exec_lo, s11
	s_wait_dscnt 0x0
	s_barrier_signal -1
	s_barrier_wait -1
	ds_load_b64 v[32:33], v11
	v_mov_b32_e32 v7, 0
	s_wait_dscnt 0x0
	v_pk_add_f32 v[8:9], v[8:9], v[32:33]
	ds_store_b64 v11, v[8:9]
	s_wait_dscnt 0x0
	s_barrier_signal -1
	s_barrier_wait -1
	s_and_saveexec_b32 s11, s5
	s_cbranch_execz .LBB10_28
; %bb.25:                               ;   in Loop: Header=BB10_4 Depth=1
	ds_load_b64 v[6:7], v10
	ds_load_b64 v[8:9], v22
	s_wait_dscnt 0x0
	v_cmp_eq_u64_e32 vcc_lo, v[6:7], v[8:9]
	v_dual_mov_b32 v7, 0 :: v_dual_mov_b32 v6, 0
	s_and_saveexec_b32 s16, vcc_lo
; %bb.26:                               ;   in Loop: Header=BB10_4 Depth=1
	ds_load_b64 v[6:7], v23
; %bb.27:                               ;   in Loop: Header=BB10_4 Depth=1
	s_or_b32 exec_lo, exec_lo, s16
.LBB10_28:                              ;   in Loop: Header=BB10_4 Depth=1
	;; [unrolled: 55-line block ×4, first 2 shown]
	s_delay_alu instid0(SALU_CYCLE_1)
	s_or_b32 exec_lo, exec_lo, s11
	s_wait_dscnt 0x0
	s_barrier_signal -1
	s_barrier_wait -1
	ds_load_b64 v[8:9], v11
	s_wait_dscnt 0x0
	v_pk_add_f32 v[6:7], v[6:7], v[8:9]
	v_mov_b64_e32 v[8:9], -1
	ds_store_b64 v11, v[6:7]
	s_wait_dscnt 0x0
	s_barrier_signal -1
	s_barrier_wait -1
	ds_load_b64 v[6:7], v10
	s_and_saveexec_b32 s11, s10
; %bb.45:                               ;   in Loop: Header=BB10_4 Depth=1
	ds_load_b64 v[8:9], v10 offset:8
; %bb.46:                               ;   in Loop: Header=BB10_4 Depth=1
	s_or_b32 exec_lo, exec_lo, s11
	s_wait_dscnt 0x0
	v_cmp_ne_u64_e32 vcc_lo, v[6:7], v[8:9]
	v_cmp_lt_i64_e64 s11, -1, v[6:7]
	s_and_b32 s16, s11, vcc_lo
	s_delay_alu instid0(SALU_CYCLE_1)
	s_and_saveexec_b32 s11, s16
	s_cbranch_execz .LBB10_3
; %bb.47:                               ;   in Loop: Header=BB10_4 Depth=1
	s_and_b32 vcc_lo, exec_lo, s24
	s_mov_b32 s16, -1
                                        ; implicit-def: $vgpr32
                                        ; implicit-def: $vgpr8_vgpr9
	s_cbranch_vccz .LBB10_49
; %bb.48:                               ;   in Loop: Header=BB10_4 Depth=1
	v_mul_u64_e32 v[8:9], s[18:19], v[6:7]
	ds_load_b64 v[34:35], v11
	s_mov_b32 s16, 0
	v_lshl_add_u64 v[8:9], v[8:9], 3, s[12:13]
	global_load_b64 v[32:33], v[8:9], off
	s_wait_loadcnt_dscnt 0x0
	v_dual_add_f32 v34, v34, v32 :: v_dual_add_f32 v32, v35, v33
	global_store_b32 v[8:9], v34, off
.LBB10_49:                              ;   in Loop: Header=BB10_4 Depth=1
	s_and_not1_b32 vcc_lo, exec_lo, s16
	s_cbranch_vccnz .LBB10_2
; %bb.50:                               ;   in Loop: Header=BB10_4 Depth=1
	s_wait_xcnt 0x0
	v_lshl_add_u64 v[8:9], v[6:7], 3, s[14:15]
	ds_load_b64 v[32:33], v11
	global_load_b64 v[6:7], v[8:9], off
	s_wait_loadcnt_dscnt 0x0
	v_dual_add_f32 v6, v32, v6 :: v_dual_add_f32 v32, v33, v7
	global_store_b32 v[8:9], v6, off
	s_branch .LBB10_2
.LBB10_51:
	s_endpgm
	.section	.rodata,"a",@progbits
	.p2align	6, 0x0
	.amdhsa_kernel _ZN9rocsparseL28csrmmnn_general_block_reduceILj1024Eli21rocsparse_complex_numIfES2_EEvT0_PKT1_PKT3_PT2_l16rocsparse_order_
		.amdhsa_group_segment_fixed_size 16384
		.amdhsa_private_segment_fixed_size 0
		.amdhsa_kernarg_size 44
		.amdhsa_user_sgpr_count 2
		.amdhsa_user_sgpr_dispatch_ptr 0
		.amdhsa_user_sgpr_queue_ptr 0
		.amdhsa_user_sgpr_kernarg_segment_ptr 1
		.amdhsa_user_sgpr_dispatch_id 0
		.amdhsa_user_sgpr_kernarg_preload_length 0
		.amdhsa_user_sgpr_kernarg_preload_offset 0
		.amdhsa_user_sgpr_private_segment_size 0
		.amdhsa_wavefront_size32 1
		.amdhsa_uses_dynamic_stack 0
		.amdhsa_enable_private_segment 0
		.amdhsa_system_sgpr_workgroup_id_x 1
		.amdhsa_system_sgpr_workgroup_id_y 0
		.amdhsa_system_sgpr_workgroup_id_z 0
		.amdhsa_system_sgpr_workgroup_info 0
		.amdhsa_system_vgpr_workitem_id 0
		.amdhsa_next_free_vgpr 36
		.amdhsa_next_free_sgpr 28
		.amdhsa_named_barrier_count 0
		.amdhsa_reserve_vcc 1
		.amdhsa_float_round_mode_32 0
		.amdhsa_float_round_mode_16_64 0
		.amdhsa_float_denorm_mode_32 3
		.amdhsa_float_denorm_mode_16_64 3
		.amdhsa_fp16_overflow 0
		.amdhsa_memory_ordered 1
		.amdhsa_forward_progress 1
		.amdhsa_inst_pref_size 17
		.amdhsa_round_robin_scheduling 0
		.amdhsa_exception_fp_ieee_invalid_op 0
		.amdhsa_exception_fp_denorm_src 0
		.amdhsa_exception_fp_ieee_div_zero 0
		.amdhsa_exception_fp_ieee_overflow 0
		.amdhsa_exception_fp_ieee_underflow 0
		.amdhsa_exception_fp_ieee_inexact 0
		.amdhsa_exception_int_div_zero 0
	.end_amdhsa_kernel
	.section	.text._ZN9rocsparseL28csrmmnn_general_block_reduceILj1024Eli21rocsparse_complex_numIfES2_EEvT0_PKT1_PKT3_PT2_l16rocsparse_order_,"axG",@progbits,_ZN9rocsparseL28csrmmnn_general_block_reduceILj1024Eli21rocsparse_complex_numIfES2_EEvT0_PKT1_PKT3_PT2_l16rocsparse_order_,comdat
.Lfunc_end10:
	.size	_ZN9rocsparseL28csrmmnn_general_block_reduceILj1024Eli21rocsparse_complex_numIfES2_EEvT0_PKT1_PKT3_PT2_l16rocsparse_order_, .Lfunc_end10-_ZN9rocsparseL28csrmmnn_general_block_reduceILj1024Eli21rocsparse_complex_numIfES2_EEvT0_PKT1_PKT3_PT2_l16rocsparse_order_
                                        ; -- End function
	.set _ZN9rocsparseL28csrmmnn_general_block_reduceILj1024Eli21rocsparse_complex_numIfES2_EEvT0_PKT1_PKT3_PT2_l16rocsparse_order_.num_vgpr, 36
	.set _ZN9rocsparseL28csrmmnn_general_block_reduceILj1024Eli21rocsparse_complex_numIfES2_EEvT0_PKT1_PKT3_PT2_l16rocsparse_order_.num_agpr, 0
	.set _ZN9rocsparseL28csrmmnn_general_block_reduceILj1024Eli21rocsparse_complex_numIfES2_EEvT0_PKT1_PKT3_PT2_l16rocsparse_order_.numbered_sgpr, 28
	.set _ZN9rocsparseL28csrmmnn_general_block_reduceILj1024Eli21rocsparse_complex_numIfES2_EEvT0_PKT1_PKT3_PT2_l16rocsparse_order_.num_named_barrier, 0
	.set _ZN9rocsparseL28csrmmnn_general_block_reduceILj1024Eli21rocsparse_complex_numIfES2_EEvT0_PKT1_PKT3_PT2_l16rocsparse_order_.private_seg_size, 0
	.set _ZN9rocsparseL28csrmmnn_general_block_reduceILj1024Eli21rocsparse_complex_numIfES2_EEvT0_PKT1_PKT3_PT2_l16rocsparse_order_.uses_vcc, 1
	.set _ZN9rocsparseL28csrmmnn_general_block_reduceILj1024Eli21rocsparse_complex_numIfES2_EEvT0_PKT1_PKT3_PT2_l16rocsparse_order_.uses_flat_scratch, 0
	.set _ZN9rocsparseL28csrmmnn_general_block_reduceILj1024Eli21rocsparse_complex_numIfES2_EEvT0_PKT1_PKT3_PT2_l16rocsparse_order_.has_dyn_sized_stack, 0
	.set _ZN9rocsparseL28csrmmnn_general_block_reduceILj1024Eli21rocsparse_complex_numIfES2_EEvT0_PKT1_PKT3_PT2_l16rocsparse_order_.has_recursion, 0
	.set _ZN9rocsparseL28csrmmnn_general_block_reduceILj1024Eli21rocsparse_complex_numIfES2_EEvT0_PKT1_PKT3_PT2_l16rocsparse_order_.has_indirect_call, 0
	.section	.AMDGPU.csdata,"",@progbits
; Kernel info:
; codeLenInByte = 2056
; TotalNumSgprs: 30
; NumVgprs: 36
; ScratchSize: 0
; MemoryBound: 0
; FloatMode: 240
; IeeeMode: 1
; LDSByteSize: 16384 bytes/workgroup (compile time only)
; SGPRBlocks: 0
; VGPRBlocks: 2
; NumSGPRsForWavesPerEU: 30
; NumVGPRsForWavesPerEU: 36
; NamedBarCnt: 0
; Occupancy: 16
; WaveLimiterHint : 0
; COMPUTE_PGM_RSRC2:SCRATCH_EN: 0
; COMPUTE_PGM_RSRC2:USER_SGPR: 2
; COMPUTE_PGM_RSRC2:TRAP_HANDLER: 0
; COMPUTE_PGM_RSRC2:TGID_X_EN: 1
; COMPUTE_PGM_RSRC2:TGID_Y_EN: 0
; COMPUTE_PGM_RSRC2:TGID_Z_EN: 0
; COMPUTE_PGM_RSRC2:TIDIG_COMP_CNT: 0
	.section	.text._ZN9rocsparseL28csrmmnn_general_block_reduceILj1024Ell21rocsparse_complex_numIfES2_EEvT0_PKT1_PKT3_PT2_l16rocsparse_order_,"axG",@progbits,_ZN9rocsparseL28csrmmnn_general_block_reduceILj1024Ell21rocsparse_complex_numIfES2_EEvT0_PKT1_PKT3_PT2_l16rocsparse_order_,comdat
	.globl	_ZN9rocsparseL28csrmmnn_general_block_reduceILj1024Ell21rocsparse_complex_numIfES2_EEvT0_PKT1_PKT3_PT2_l16rocsparse_order_ ; -- Begin function _ZN9rocsparseL28csrmmnn_general_block_reduceILj1024Ell21rocsparse_complex_numIfES2_EEvT0_PKT1_PKT3_PT2_l16rocsparse_order_
	.p2align	8
	.type	_ZN9rocsparseL28csrmmnn_general_block_reduceILj1024Ell21rocsparse_complex_numIfES2_EEvT0_PKT1_PKT3_PT2_l16rocsparse_order_,@function
_ZN9rocsparseL28csrmmnn_general_block_reduceILj1024Ell21rocsparse_complex_numIfES2_EEvT0_PKT1_PKT3_PT2_l16rocsparse_order_: ; @_ZN9rocsparseL28csrmmnn_general_block_reduceILj1024Ell21rocsparse_complex_numIfES2_EEvT0_PKT1_PKT3_PT2_l16rocsparse_order_
; %bb.0:
	s_load_b64 s[20:21], s[0:1], 0x0
	v_mov_b64_e32 v[2:3], -1
	v_mov_b64_e32 v[4:5], 0
	v_dual_mov_b32 v1, 0 :: v_dual_lshlrev_b32 v10, 3, v0
	s_mov_b32 s2, exec_lo
	ds_store_2addr_stride64_b64 v10, v[2:3], v[4:5] offset1:16
	s_wait_dscnt 0x0
	s_barrier_signal -1
	s_barrier_wait -1
	s_wait_kmcnt 0x0
	v_cmpx_gt_i64_e64 s[20:21], v[0:1]
	s_cbranch_execz .LBB11_51
; %bb.1:
	s_clause 0x1
	s_load_b32 s9, s[0:1], 0x28
	s_load_b256 s[12:19], s[0:1], 0x8
	s_bfe_u32 s2, ttmp6, 0x4000c
	s_and_b32 s3, ttmp6, 15
	s_add_co_i32 s2, s2, 1
	s_getreg_b32 s4, hwreg(HW_REG_IB_STS2, 6, 4)
	s_mul_i32 s2, ttmp9, s2
	s_mov_b32 s23, 0
	s_add_co_i32 s3, s3, s2
	s_cmp_eq_u32 s4, 0
	v_dual_mov_b32 v5, v1 :: v_dual_add_nc_u32 v20, 0xffffff80, v10
	s_cselect_b32 s22, ttmp9, s3
	v_lshlrev_b32_e32 v4, 3, v0
	s_lshl_b64 s[26:27], s[22:23], 3
	s_mul_u64 s[10:11], s[20:21], s[22:23]
	v_or_b32_e32 v11, 0x2000, v10
	s_wait_xcnt 0x0
	v_cmp_ne_u32_e64 s0, 0, v0
	v_add_nc_u32_e32 v12, -8, v10
	v_cmp_lt_u32_e64 s1, 1, v0
	s_wait_kmcnt 0x0
	s_cmp_lg_u32 s9, 1
	v_add_nc_u32_e32 v13, -8, v11
	s_cselect_b32 s24, -1, 0
	s_lshl_b64 s[10:11], s[10:11], 3
	v_dual_add_nc_u32 v14, -16, v10 :: v_dual_add_nc_u32 v15, -16, v11
	s_add_nc_u64 s[10:11], s[14:15], s[10:11]
	v_cmp_lt_u32_e64 s2, 3, v0
	v_add_nc_u64_e32 v[2:3], s[10:11], v[4:5]
	v_add_nc_u64_e32 v[4:5], s[12:13], v[4:5]
	s_mul_u64 s[12:13], s[18:19], s[22:23]
	v_subrev_nc_u32_e32 v16, 32, v10
	v_subrev_nc_u32_e32 v17, 32, v11
	v_cmp_lt_u32_e64 s3, 7, v0
	v_subrev_nc_u32_e32 v18, 64, v10
	v_subrev_nc_u32_e32 v19, 64, v11
	v_cmp_lt_u32_e64 s4, 15, v0
	v_add_nc_u32_e32 v21, 0xffffff80, v11
	v_cmp_lt_u32_e64 s5, 31, v0
	v_add_nc_u32_e32 v22, 0xffffff00, v10
	v_add_nc_u32_e32 v23, 0xffffff00, v11
	v_cmp_lt_u32_e64 s6, 63, v0
	v_add_nc_u32_e32 v24, 0xfffffe00, v10
	;; [unrolled: 3-line block ×5, first 2 shown]
	v_add_nc_u32_e32 v31, 0xfffff000, v11
	v_cmp_ne_u32_e64 s10, 0x3ff, v0
	s_lshl_b64 s[14:15], s[12:13], 3
	s_add_nc_u64 s[12:13], s[16:17], s[26:27]
	s_add_nc_u64 s[14:15], s[16:17], s[14:15]
	s_branch .LBB11_4
.LBB11_2:                               ;   in Loop: Header=BB11_4 Depth=1
	global_store_b32 v[8:9], v32, off offset:4
.LBB11_3:                               ;   in Loop: Header=BB11_4 Depth=1
	s_wait_xcnt 0x0
	s_or_b32 exec_lo, exec_lo, s11
	v_add_nc_u64_e32 v[0:1], 0x400, v[0:1]
	v_add_nc_u64_e32 v[2:3], 0x2000, v[2:3]
	v_add_nc_u64_e32 v[4:5], 0x2000, v[4:5]
	s_wait_storecnt 0x0
	s_barrier_signal -1
	s_barrier_wait -1
	s_delay_alu instid0(VALU_DEP_3) | instskip(SKIP_1) | instid1(SALU_CYCLE_1)
	v_cmp_le_i64_e32 vcc_lo, s[20:21], v[0:1]
	s_or_b32 s23, vcc_lo, s23
	s_and_not1_b32 exec_lo, exec_lo, s23
	s_cbranch_execz .LBB11_51
.LBB11_4:                               ; =>This Inner Loop Header: Depth=1
	global_load_b64 v[32:33], v[4:5], off
	global_load_b64 v[34:35], v[2:3], off
	v_dual_mov_b32 v6, 0 :: v_dual_mov_b32 v8, 0
	v_mov_b32_e32 v9, 0
	s_wait_loadcnt 0x1
	ds_store_b64 v10, v[32:33]
	s_wait_loadcnt 0x0
	ds_store_b64 v11, v[34:35]
	s_wait_dscnt 0x0
	s_barrier_signal -1
	s_barrier_wait -1
	s_and_saveexec_b32 s11, s0
	s_cbranch_execz .LBB11_8
; %bb.5:                                ;   in Loop: Header=BB11_4 Depth=1
	ds_load_2addr_b64 v[32:35], v12 offset1:1
	v_dual_mov_b32 v9, 0 :: v_dual_mov_b32 v8, 0
	s_mov_b32 s16, exec_lo
	s_wait_dscnt 0x0
	v_cmpx_eq_u64_e64 v[34:35], v[32:33]
; %bb.6:                                ;   in Loop: Header=BB11_4 Depth=1
	ds_load_b64 v[8:9], v13
; %bb.7:                                ;   in Loop: Header=BB11_4 Depth=1
	s_or_b32 exec_lo, exec_lo, s16
.LBB11_8:                               ;   in Loop: Header=BB11_4 Depth=1
	s_delay_alu instid0(SALU_CYCLE_1)
	s_or_b32 exec_lo, exec_lo, s11
	s_wait_dscnt 0x0
	s_barrier_signal -1
	s_barrier_wait -1
	ds_load_b64 v[32:33], v11
	v_mov_b32_e32 v7, 0
	s_wait_dscnt 0x0
	v_pk_add_f32 v[8:9], v[8:9], v[32:33]
	ds_store_b64 v11, v[8:9]
	s_wait_dscnt 0x0
	s_barrier_signal -1
	s_barrier_wait -1
	s_and_saveexec_b32 s11, s1
	s_cbranch_execz .LBB11_12
; %bb.9:                                ;   in Loop: Header=BB11_4 Depth=1
	ds_load_b64 v[6:7], v10
	ds_load_b64 v[8:9], v14
	s_wait_dscnt 0x0
	v_cmp_eq_u64_e32 vcc_lo, v[6:7], v[8:9]
	v_dual_mov_b32 v7, 0 :: v_dual_mov_b32 v6, 0
	s_and_saveexec_b32 s16, vcc_lo
; %bb.10:                               ;   in Loop: Header=BB11_4 Depth=1
	ds_load_b64 v[6:7], v15
; %bb.11:                               ;   in Loop: Header=BB11_4 Depth=1
	s_or_b32 exec_lo, exec_lo, s16
.LBB11_12:                              ;   in Loop: Header=BB11_4 Depth=1
	s_delay_alu instid0(SALU_CYCLE_1)
	s_or_b32 exec_lo, exec_lo, s11
	s_wait_dscnt 0x0
	s_barrier_signal -1
	s_barrier_wait -1
	ds_load_b64 v[8:9], v11
	s_wait_dscnt 0x0
	v_pk_add_f32 v[32:33], v[6:7], v[8:9]
	v_dual_mov_b32 v6, 0 :: v_dual_mov_b32 v8, 0
	v_mov_b32_e32 v9, 0
	ds_store_b64 v11, v[32:33]
	s_wait_dscnt 0x0
	s_barrier_signal -1
	s_barrier_wait -1
	s_and_saveexec_b32 s11, s2
	s_cbranch_execz .LBB11_16
; %bb.13:                               ;   in Loop: Header=BB11_4 Depth=1
	ds_load_b64 v[8:9], v10
	ds_load_b64 v[32:33], v16
	s_wait_dscnt 0x0
	v_cmp_eq_u64_e32 vcc_lo, v[8:9], v[32:33]
	v_dual_mov_b32 v9, 0 :: v_dual_mov_b32 v8, 0
	s_and_saveexec_b32 s16, vcc_lo
; %bb.14:                               ;   in Loop: Header=BB11_4 Depth=1
	ds_load_b64 v[8:9], v17
; %bb.15:                               ;   in Loop: Header=BB11_4 Depth=1
	s_or_b32 exec_lo, exec_lo, s16
.LBB11_16:                              ;   in Loop: Header=BB11_4 Depth=1
	s_delay_alu instid0(SALU_CYCLE_1)
	s_or_b32 exec_lo, exec_lo, s11
	s_wait_dscnt 0x0
	s_barrier_signal -1
	s_barrier_wait -1
	ds_load_b64 v[32:33], v11
	v_mov_b32_e32 v7, 0
	s_wait_dscnt 0x0
	v_pk_add_f32 v[8:9], v[8:9], v[32:33]
	ds_store_b64 v11, v[8:9]
	s_wait_dscnt 0x0
	s_barrier_signal -1
	s_barrier_wait -1
	s_and_saveexec_b32 s11, s3
	s_cbranch_execz .LBB11_20
; %bb.17:                               ;   in Loop: Header=BB11_4 Depth=1
	ds_load_b64 v[6:7], v10
	ds_load_b64 v[8:9], v18
	s_wait_dscnt 0x0
	v_cmp_eq_u64_e32 vcc_lo, v[6:7], v[8:9]
	v_dual_mov_b32 v7, 0 :: v_dual_mov_b32 v6, 0
	s_and_saveexec_b32 s16, vcc_lo
; %bb.18:                               ;   in Loop: Header=BB11_4 Depth=1
	ds_load_b64 v[6:7], v19
; %bb.19:                               ;   in Loop: Header=BB11_4 Depth=1
	s_or_b32 exec_lo, exec_lo, s16
.LBB11_20:                              ;   in Loop: Header=BB11_4 Depth=1
	s_delay_alu instid0(SALU_CYCLE_1)
	s_or_b32 exec_lo, exec_lo, s11
	s_wait_dscnt 0x0
	s_barrier_signal -1
	s_barrier_wait -1
	ds_load_b64 v[8:9], v11
	s_wait_dscnt 0x0
	v_pk_add_f32 v[32:33], v[6:7], v[8:9]
	v_dual_mov_b32 v6, 0 :: v_dual_mov_b32 v8, 0
	v_mov_b32_e32 v9, 0
	ds_store_b64 v11, v[32:33]
	s_wait_dscnt 0x0
	s_barrier_signal -1
	s_barrier_wait -1
	s_and_saveexec_b32 s11, s4
	s_cbranch_execz .LBB11_24
; %bb.21:                               ;   in Loop: Header=BB11_4 Depth=1
	ds_load_b64 v[8:9], v10
	ds_load_b64 v[32:33], v20
	s_wait_dscnt 0x0
	v_cmp_eq_u64_e32 vcc_lo, v[8:9], v[32:33]
	v_dual_mov_b32 v9, 0 :: v_dual_mov_b32 v8, 0
	s_and_saveexec_b32 s16, vcc_lo
; %bb.22:                               ;   in Loop: Header=BB11_4 Depth=1
	ds_load_b64 v[8:9], v21
; %bb.23:                               ;   in Loop: Header=BB11_4 Depth=1
	s_or_b32 exec_lo, exec_lo, s16
.LBB11_24:                              ;   in Loop: Header=BB11_4 Depth=1
	s_delay_alu instid0(SALU_CYCLE_1)
	s_or_b32 exec_lo, exec_lo, s11
	s_wait_dscnt 0x0
	s_barrier_signal -1
	s_barrier_wait -1
	ds_load_b64 v[32:33], v11
	v_mov_b32_e32 v7, 0
	s_wait_dscnt 0x0
	v_pk_add_f32 v[8:9], v[8:9], v[32:33]
	ds_store_b64 v11, v[8:9]
	s_wait_dscnt 0x0
	s_barrier_signal -1
	s_barrier_wait -1
	s_and_saveexec_b32 s11, s5
	s_cbranch_execz .LBB11_28
; %bb.25:                               ;   in Loop: Header=BB11_4 Depth=1
	ds_load_b64 v[6:7], v10
	ds_load_b64 v[8:9], v22
	s_wait_dscnt 0x0
	v_cmp_eq_u64_e32 vcc_lo, v[6:7], v[8:9]
	v_dual_mov_b32 v7, 0 :: v_dual_mov_b32 v6, 0
	s_and_saveexec_b32 s16, vcc_lo
; %bb.26:                               ;   in Loop: Header=BB11_4 Depth=1
	ds_load_b64 v[6:7], v23
; %bb.27:                               ;   in Loop: Header=BB11_4 Depth=1
	s_or_b32 exec_lo, exec_lo, s16
.LBB11_28:                              ;   in Loop: Header=BB11_4 Depth=1
	;; [unrolled: 55-line block ×4, first 2 shown]
	s_delay_alu instid0(SALU_CYCLE_1)
	s_or_b32 exec_lo, exec_lo, s11
	s_wait_dscnt 0x0
	s_barrier_signal -1
	s_barrier_wait -1
	ds_load_b64 v[8:9], v11
	s_wait_dscnt 0x0
	v_pk_add_f32 v[6:7], v[6:7], v[8:9]
	v_mov_b64_e32 v[8:9], -1
	ds_store_b64 v11, v[6:7]
	s_wait_dscnt 0x0
	s_barrier_signal -1
	s_barrier_wait -1
	ds_load_b64 v[6:7], v10
	s_and_saveexec_b32 s11, s10
; %bb.45:                               ;   in Loop: Header=BB11_4 Depth=1
	ds_load_b64 v[8:9], v10 offset:8
; %bb.46:                               ;   in Loop: Header=BB11_4 Depth=1
	s_or_b32 exec_lo, exec_lo, s11
	s_wait_dscnt 0x0
	v_cmp_ne_u64_e32 vcc_lo, v[6:7], v[8:9]
	v_cmp_lt_i64_e64 s11, -1, v[6:7]
	s_and_b32 s16, s11, vcc_lo
	s_delay_alu instid0(SALU_CYCLE_1)
	s_and_saveexec_b32 s11, s16
	s_cbranch_execz .LBB11_3
; %bb.47:                               ;   in Loop: Header=BB11_4 Depth=1
	s_and_b32 vcc_lo, exec_lo, s24
	s_mov_b32 s16, -1
                                        ; implicit-def: $vgpr32
                                        ; implicit-def: $vgpr8_vgpr9
	s_cbranch_vccz .LBB11_49
; %bb.48:                               ;   in Loop: Header=BB11_4 Depth=1
	v_mul_u64_e32 v[8:9], s[18:19], v[6:7]
	ds_load_b64 v[34:35], v11
	s_mov_b32 s16, 0
	v_lshl_add_u64 v[8:9], v[8:9], 3, s[12:13]
	global_load_b64 v[32:33], v[8:9], off
	s_wait_loadcnt_dscnt 0x0
	v_dual_add_f32 v34, v34, v32 :: v_dual_add_f32 v32, v35, v33
	global_store_b32 v[8:9], v34, off
.LBB11_49:                              ;   in Loop: Header=BB11_4 Depth=1
	s_and_not1_b32 vcc_lo, exec_lo, s16
	s_cbranch_vccnz .LBB11_2
; %bb.50:                               ;   in Loop: Header=BB11_4 Depth=1
	s_wait_xcnt 0x0
	v_lshl_add_u64 v[8:9], v[6:7], 3, s[14:15]
	ds_load_b64 v[32:33], v11
	global_load_b64 v[6:7], v[8:9], off
	s_wait_loadcnt_dscnt 0x0
	v_dual_add_f32 v6, v32, v6 :: v_dual_add_f32 v32, v33, v7
	global_store_b32 v[8:9], v6, off
	s_branch .LBB11_2
.LBB11_51:
	s_endpgm
	.section	.rodata,"a",@progbits
	.p2align	6, 0x0
	.amdhsa_kernel _ZN9rocsparseL28csrmmnn_general_block_reduceILj1024Ell21rocsparse_complex_numIfES2_EEvT0_PKT1_PKT3_PT2_l16rocsparse_order_
		.amdhsa_group_segment_fixed_size 16384
		.amdhsa_private_segment_fixed_size 0
		.amdhsa_kernarg_size 44
		.amdhsa_user_sgpr_count 2
		.amdhsa_user_sgpr_dispatch_ptr 0
		.amdhsa_user_sgpr_queue_ptr 0
		.amdhsa_user_sgpr_kernarg_segment_ptr 1
		.amdhsa_user_sgpr_dispatch_id 0
		.amdhsa_user_sgpr_kernarg_preload_length 0
		.amdhsa_user_sgpr_kernarg_preload_offset 0
		.amdhsa_user_sgpr_private_segment_size 0
		.amdhsa_wavefront_size32 1
		.amdhsa_uses_dynamic_stack 0
		.amdhsa_enable_private_segment 0
		.amdhsa_system_sgpr_workgroup_id_x 1
		.amdhsa_system_sgpr_workgroup_id_y 0
		.amdhsa_system_sgpr_workgroup_id_z 0
		.amdhsa_system_sgpr_workgroup_info 0
		.amdhsa_system_vgpr_workitem_id 0
		.amdhsa_next_free_vgpr 36
		.amdhsa_next_free_sgpr 28
		.amdhsa_named_barrier_count 0
		.amdhsa_reserve_vcc 1
		.amdhsa_float_round_mode_32 0
		.amdhsa_float_round_mode_16_64 0
		.amdhsa_float_denorm_mode_32 3
		.amdhsa_float_denorm_mode_16_64 3
		.amdhsa_fp16_overflow 0
		.amdhsa_memory_ordered 1
		.amdhsa_forward_progress 1
		.amdhsa_inst_pref_size 16
		.amdhsa_round_robin_scheduling 0
		.amdhsa_exception_fp_ieee_invalid_op 0
		.amdhsa_exception_fp_denorm_src 0
		.amdhsa_exception_fp_ieee_div_zero 0
		.amdhsa_exception_fp_ieee_overflow 0
		.amdhsa_exception_fp_ieee_underflow 0
		.amdhsa_exception_fp_ieee_inexact 0
		.amdhsa_exception_int_div_zero 0
	.end_amdhsa_kernel
	.section	.text._ZN9rocsparseL28csrmmnn_general_block_reduceILj1024Ell21rocsparse_complex_numIfES2_EEvT0_PKT1_PKT3_PT2_l16rocsparse_order_,"axG",@progbits,_ZN9rocsparseL28csrmmnn_general_block_reduceILj1024Ell21rocsparse_complex_numIfES2_EEvT0_PKT1_PKT3_PT2_l16rocsparse_order_,comdat
.Lfunc_end11:
	.size	_ZN9rocsparseL28csrmmnn_general_block_reduceILj1024Ell21rocsparse_complex_numIfES2_EEvT0_PKT1_PKT3_PT2_l16rocsparse_order_, .Lfunc_end11-_ZN9rocsparseL28csrmmnn_general_block_reduceILj1024Ell21rocsparse_complex_numIfES2_EEvT0_PKT1_PKT3_PT2_l16rocsparse_order_
                                        ; -- End function
	.set _ZN9rocsparseL28csrmmnn_general_block_reduceILj1024Ell21rocsparse_complex_numIfES2_EEvT0_PKT1_PKT3_PT2_l16rocsparse_order_.num_vgpr, 36
	.set _ZN9rocsparseL28csrmmnn_general_block_reduceILj1024Ell21rocsparse_complex_numIfES2_EEvT0_PKT1_PKT3_PT2_l16rocsparse_order_.num_agpr, 0
	.set _ZN9rocsparseL28csrmmnn_general_block_reduceILj1024Ell21rocsparse_complex_numIfES2_EEvT0_PKT1_PKT3_PT2_l16rocsparse_order_.numbered_sgpr, 28
	.set _ZN9rocsparseL28csrmmnn_general_block_reduceILj1024Ell21rocsparse_complex_numIfES2_EEvT0_PKT1_PKT3_PT2_l16rocsparse_order_.num_named_barrier, 0
	.set _ZN9rocsparseL28csrmmnn_general_block_reduceILj1024Ell21rocsparse_complex_numIfES2_EEvT0_PKT1_PKT3_PT2_l16rocsparse_order_.private_seg_size, 0
	.set _ZN9rocsparseL28csrmmnn_general_block_reduceILj1024Ell21rocsparse_complex_numIfES2_EEvT0_PKT1_PKT3_PT2_l16rocsparse_order_.uses_vcc, 1
	.set _ZN9rocsparseL28csrmmnn_general_block_reduceILj1024Ell21rocsparse_complex_numIfES2_EEvT0_PKT1_PKT3_PT2_l16rocsparse_order_.uses_flat_scratch, 0
	.set _ZN9rocsparseL28csrmmnn_general_block_reduceILj1024Ell21rocsparse_complex_numIfES2_EEvT0_PKT1_PKT3_PT2_l16rocsparse_order_.has_dyn_sized_stack, 0
	.set _ZN9rocsparseL28csrmmnn_general_block_reduceILj1024Ell21rocsparse_complex_numIfES2_EEvT0_PKT1_PKT3_PT2_l16rocsparse_order_.has_recursion, 0
	.set _ZN9rocsparseL28csrmmnn_general_block_reduceILj1024Ell21rocsparse_complex_numIfES2_EEvT0_PKT1_PKT3_PT2_l16rocsparse_order_.has_indirect_call, 0
	.section	.AMDGPU.csdata,"",@progbits
; Kernel info:
; codeLenInByte = 2040
; TotalNumSgprs: 30
; NumVgprs: 36
; ScratchSize: 0
; MemoryBound: 0
; FloatMode: 240
; IeeeMode: 1
; LDSByteSize: 16384 bytes/workgroup (compile time only)
; SGPRBlocks: 0
; VGPRBlocks: 2
; NumSGPRsForWavesPerEU: 30
; NumVGPRsForWavesPerEU: 36
; NamedBarCnt: 0
; Occupancy: 16
; WaveLimiterHint : 0
; COMPUTE_PGM_RSRC2:SCRATCH_EN: 0
; COMPUTE_PGM_RSRC2:USER_SGPR: 2
; COMPUTE_PGM_RSRC2:TRAP_HANDLER: 0
; COMPUTE_PGM_RSRC2:TGID_X_EN: 1
; COMPUTE_PGM_RSRC2:TGID_Y_EN: 0
; COMPUTE_PGM_RSRC2:TGID_Z_EN: 0
; COMPUTE_PGM_RSRC2:TIDIG_COMP_CNT: 0
	.section	.text._ZN9rocsparseL28csrmmnn_general_block_reduceILj1024Eii21rocsparse_complex_numIdES2_EEvT0_PKT1_PKT3_PT2_l16rocsparse_order_,"axG",@progbits,_ZN9rocsparseL28csrmmnn_general_block_reduceILj1024Eii21rocsparse_complex_numIdES2_EEvT0_PKT1_PKT3_PT2_l16rocsparse_order_,comdat
	.globl	_ZN9rocsparseL28csrmmnn_general_block_reduceILj1024Eii21rocsparse_complex_numIdES2_EEvT0_PKT1_PKT3_PT2_l16rocsparse_order_ ; -- Begin function _ZN9rocsparseL28csrmmnn_general_block_reduceILj1024Eii21rocsparse_complex_numIdES2_EEvT0_PKT1_PKT3_PT2_l16rocsparse_order_
	.p2align	8
	.type	_ZN9rocsparseL28csrmmnn_general_block_reduceILj1024Eii21rocsparse_complex_numIdES2_EEvT0_PKT1_PKT3_PT2_l16rocsparse_order_,@function
_ZN9rocsparseL28csrmmnn_general_block_reduceILj1024Eii21rocsparse_complex_numIdES2_EEvT0_PKT1_PKT3_PT2_l16rocsparse_order_: ; @_ZN9rocsparseL28csrmmnn_general_block_reduceILj1024Eii21rocsparse_complex_numIdES2_EEvT0_PKT1_PKT3_PT2_l16rocsparse_order_
; %bb.0:
	s_load_b32 s22, s[0:1], 0x0
	v_dual_mov_b32 v3, 0 :: v_dual_lshlrev_b32 v6, 2, v0
	v_dual_mov_b32 v7, -1 :: v_dual_lshlrev_b32 v1, 4, v0
	s_mov_b32 s23, 0
	s_delay_alu instid0(VALU_DEP_2)
	v_dual_mov_b32 v2, v3 :: v_dual_mov_b32 v4, v3
	v_mov_b32_e32 v5, v3
	ds_store_b32 v6, v7 offset:16384
	ds_store_b128 v1, v[2:5]
	s_wait_dscnt 0x0
	s_barrier_signal -1
	s_barrier_wait -1
	s_mov_b32 s2, exec_lo
	s_wait_kmcnt 0x0
	v_cmpx_gt_i32_e64 s22, v0
	s_cbranch_execz .LBB12_50
; %bb.1:
	s_clause 0x1
	s_load_b32 s10, s[0:1], 0x28
	s_load_b256 s[12:19], s[0:1], 0x8
	s_bfe_u32 s2, ttmp6, 0x4000c
	s_and_b32 s3, ttmp6, 15
	s_add_co_i32 s2, s2, 1
	s_getreg_b32 s4, hwreg(HW_REG_IB_STS2, 6, 4)
	s_mul_i32 s2, ttmp9, s2
	v_or_b32_e32 v12, 0x4000, v6
	s_add_co_i32 s3, s3, s2
	s_cmp_eq_u32 s4, 0
	s_wait_xcnt 0x0
	v_cmp_ne_u32_e64 s0, 0, v0
	s_cselect_b32 s20, ttmp9, s3
	v_dual_add_nc_u32 v13, -4, v12 :: v_dual_add_nc_u32 v14, -16, v1
	v_cmp_lt_u32_e64 s1, 1, v0
	v_dual_add_nc_u32 v15, -8, v12 :: v_dual_add_nc_u32 v17, -16, v12
	v_subrev_nc_u32_e32 v16, 32, v1
	v_cmp_lt_u32_e64 s2, 3, v0
	v_subrev_nc_u32_e32 v18, 64, v1
	s_wait_kmcnt 0x0
	s_cmp_lg_u32 s10, 1
	v_cmp_lt_u32_e64 s3, 7, v0
	s_cselect_b32 s25, -1, 0
	s_ashr_i32 s21, s20, 31
	v_subrev_nc_u32_e32 v19, 32, v12
	s_mul_u64 s[26:27], s[18:19], s[20:21]
	v_add_nc_u32_e32 v20, 0xffffff80, v1
	v_cmp_lt_u32_e64 s4, 15, v0
	v_subrev_nc_u32_e32 v21, 64, v12
	v_add_nc_u32_e32 v22, 0xffffff00, v1
	v_cmp_lt_u32_e64 s5, 31, v0
	v_add_nc_u32_e32 v23, 0xffffff80, v12
	v_add_nc_u32_e32 v24, 0xfffffe00, v1
	v_cmp_lt_u32_e64 s6, 63, v0
	v_add_nc_u32_e32 v25, 0xffffff00, v12
	;; [unrolled: 3-line block ×5, first 2 shown]
	v_add_nc_u32_e32 v32, 0xffffe000, v1
	v_cmp_ne_u32_e64 s10, 0x3ff, v0
	s_mul_i32 s24, s22, s20
	s_lshl_b64 s[20:21], s[20:21], 4
	s_lshl_b64 s[26:27], s[26:27], 4
	s_add_nc_u64 s[20:21], s[16:17], s[20:21]
	s_add_nc_u64 s[16:17], s[16:17], s[26:27]
	s_branch .LBB12_3
.LBB12_2:                               ;   in Loop: Header=BB12_3 Depth=1
	s_wait_xcnt 0x0
	s_or_b32 exec_lo, exec_lo, s11
	v_add_nc_u32_e32 v0, 0x400, v0
	s_wait_storecnt 0x0
	s_barrier_signal -1
	s_barrier_wait -1
	s_delay_alu instid0(VALU_DEP_1) | instskip(SKIP_1) | instid1(SALU_CYCLE_1)
	v_cmp_le_i32_e32 vcc_lo, s22, v0
	s_or_b32 s23, vcc_lo, s23
	s_and_not1_b32 exec_lo, exec_lo, s23
	s_cbranch_execz .LBB12_50
.LBB12_3:                               ; =>This Inner Loop Header: Depth=1
	v_add_nc_u32_e32 v2, s24, v0
	v_mov_b64_e32 v[6:7], 0
	v_mov_b64_e32 v[10:11], 0
	;; [unrolled: 1-line block ×3, first 2 shown]
	global_load_b32 v4, v0, s[12:13] scale_offset
	global_load_b128 v[34:37], v2, s[14:15] scale_offset
	s_wait_loadcnt 0x1
	ds_store_b32 v12, v4
	s_wait_loadcnt 0x0
	ds_store_2addr_b64 v1, v[34:35], v[36:37] offset1:1
	s_wait_dscnt 0x0
	s_barrier_signal -1
	s_barrier_wait -1
	s_and_saveexec_b32 s11, s0
	s_cbranch_execz .LBB12_7
; %bb.4:                                ;   in Loop: Header=BB12_3 Depth=1
	ds_load_2addr_b32 v[4:5], v13 offset1:1
	v_mov_b64_e32 v[8:9], 0
	v_mov_b64_e32 v[10:11], 0
	s_mov_b32 s26, exec_lo
	s_wait_dscnt 0x0
	v_cmpx_eq_u32_e64 v5, v4
; %bb.5:                                ;   in Loop: Header=BB12_3 Depth=1
	ds_load_b128 v[8:11], v14
; %bb.6:                                ;   in Loop: Header=BB12_3 Depth=1
	s_or_b32 exec_lo, exec_lo, s26
.LBB12_7:                               ;   in Loop: Header=BB12_3 Depth=1
	s_delay_alu instid0(SALU_CYCLE_1)
	s_or_b32 exec_lo, exec_lo, s11
	s_wait_dscnt 0x0
	s_barrier_signal -1
	s_barrier_wait -1
	ds_load_b128 v[34:37], v1
	v_mov_b64_e32 v[4:5], 0
	s_wait_dscnt 0x0
	v_add_f64_e32 v[8:9], v[8:9], v[34:35]
	v_add_f64_e32 v[10:11], v[10:11], v[36:37]
	ds_store_b128 v1, v[8:11]
	s_wait_dscnt 0x0
	s_barrier_signal -1
	s_barrier_wait -1
	s_and_saveexec_b32 s11, s1
	s_cbranch_execz .LBB12_11
; %bb.8:                                ;   in Loop: Header=BB12_3 Depth=1
	ds_load_b32 v2, v12
	ds_load_b32 v8, v15
	v_mov_b64_e32 v[4:5], 0
	v_mov_b64_e32 v[6:7], 0
	s_mov_b32 s26, exec_lo
	s_wait_dscnt 0x0
	v_cmpx_eq_u32_e64 v2, v8
; %bb.9:                                ;   in Loop: Header=BB12_3 Depth=1
	ds_load_b128 v[4:7], v16
; %bb.10:                               ;   in Loop: Header=BB12_3 Depth=1
	s_or_b32 exec_lo, exec_lo, s26
.LBB12_11:                              ;   in Loop: Header=BB12_3 Depth=1
	s_delay_alu instid0(SALU_CYCLE_1)
	s_or_b32 exec_lo, exec_lo, s11
	s_wait_dscnt 0x0
	s_barrier_signal -1
	s_barrier_wait -1
	ds_load_b128 v[8:11], v1
	s_wait_dscnt 0x0
	v_add_f64_e32 v[34:35], v[4:5], v[8:9]
	v_add_f64_e32 v[36:37], v[6:7], v[10:11]
	v_mov_b64_e32 v[6:7], 0
	v_mov_b64_e32 v[10:11], 0
	v_mov_b64_e32 v[8:9], 0
	ds_store_b128 v1, v[34:37]
	s_wait_dscnt 0x0
	s_barrier_signal -1
	s_barrier_wait -1
	s_and_saveexec_b32 s11, s2
	s_cbranch_execz .LBB12_15
; %bb.12:                               ;   in Loop: Header=BB12_3 Depth=1
	ds_load_b32 v2, v12
	ds_load_b32 v4, v17
	v_mov_b64_e32 v[8:9], 0
	v_mov_b64_e32 v[10:11], 0
	s_mov_b32 s26, exec_lo
	s_wait_dscnt 0x0
	v_cmpx_eq_u32_e64 v2, v4
; %bb.13:                               ;   in Loop: Header=BB12_3 Depth=1
	ds_load_b128 v[8:11], v18
; %bb.14:                               ;   in Loop: Header=BB12_3 Depth=1
	s_or_b32 exec_lo, exec_lo, s26
.LBB12_15:                              ;   in Loop: Header=BB12_3 Depth=1
	s_delay_alu instid0(SALU_CYCLE_1)
	s_or_b32 exec_lo, exec_lo, s11
	s_wait_dscnt 0x0
	s_barrier_signal -1
	s_barrier_wait -1
	ds_load_b128 v[34:37], v1
	v_mov_b64_e32 v[4:5], 0
	s_wait_dscnt 0x0
	v_add_f64_e32 v[8:9], v[8:9], v[34:35]
	v_add_f64_e32 v[10:11], v[10:11], v[36:37]
	ds_store_b128 v1, v[8:11]
	s_wait_dscnt 0x0
	s_barrier_signal -1
	s_barrier_wait -1
	s_and_saveexec_b32 s11, s3
	s_cbranch_execz .LBB12_19
; %bb.16:                               ;   in Loop: Header=BB12_3 Depth=1
	ds_load_b32 v2, v12
	ds_load_b32 v8, v19
	v_mov_b64_e32 v[4:5], 0
	v_mov_b64_e32 v[6:7], 0
	s_mov_b32 s26, exec_lo
	s_wait_dscnt 0x0
	v_cmpx_eq_u32_e64 v2, v8
; %bb.17:                               ;   in Loop: Header=BB12_3 Depth=1
	ds_load_b128 v[4:7], v20
; %bb.18:                               ;   in Loop: Header=BB12_3 Depth=1
	s_or_b32 exec_lo, exec_lo, s26
.LBB12_19:                              ;   in Loop: Header=BB12_3 Depth=1
	s_delay_alu instid0(SALU_CYCLE_1)
	s_or_b32 exec_lo, exec_lo, s11
	s_wait_dscnt 0x0
	s_barrier_signal -1
	s_barrier_wait -1
	ds_load_b128 v[8:11], v1
	s_wait_dscnt 0x0
	v_add_f64_e32 v[34:35], v[4:5], v[8:9]
	v_add_f64_e32 v[36:37], v[6:7], v[10:11]
	v_mov_b64_e32 v[6:7], 0
	v_mov_b64_e32 v[10:11], 0
	v_mov_b64_e32 v[8:9], 0
	ds_store_b128 v1, v[34:37]
	s_wait_dscnt 0x0
	s_barrier_signal -1
	s_barrier_wait -1
	s_and_saveexec_b32 s11, s4
	s_cbranch_execz .LBB12_23
; %bb.20:                               ;   in Loop: Header=BB12_3 Depth=1
	ds_load_b32 v2, v12
	ds_load_b32 v4, v21
	v_mov_b64_e32 v[8:9], 0
	v_mov_b64_e32 v[10:11], 0
	s_mov_b32 s26, exec_lo
	s_wait_dscnt 0x0
	v_cmpx_eq_u32_e64 v2, v4
; %bb.21:                               ;   in Loop: Header=BB12_3 Depth=1
	ds_load_b128 v[8:11], v22
; %bb.22:                               ;   in Loop: Header=BB12_3 Depth=1
	s_or_b32 exec_lo, exec_lo, s26
.LBB12_23:                              ;   in Loop: Header=BB12_3 Depth=1
	s_delay_alu instid0(SALU_CYCLE_1)
	s_or_b32 exec_lo, exec_lo, s11
	s_wait_dscnt 0x0
	s_barrier_signal -1
	s_barrier_wait -1
	ds_load_b128 v[34:37], v1
	v_mov_b64_e32 v[4:5], 0
	s_wait_dscnt 0x0
	v_add_f64_e32 v[8:9], v[8:9], v[34:35]
	v_add_f64_e32 v[10:11], v[10:11], v[36:37]
	ds_store_b128 v1, v[8:11]
	s_wait_dscnt 0x0
	s_barrier_signal -1
	s_barrier_wait -1
	s_and_saveexec_b32 s11, s5
	s_cbranch_execz .LBB12_27
; %bb.24:                               ;   in Loop: Header=BB12_3 Depth=1
	ds_load_b32 v2, v12
	ds_load_b32 v8, v23
	v_mov_b64_e32 v[4:5], 0
	v_mov_b64_e32 v[6:7], 0
	s_mov_b32 s26, exec_lo
	s_wait_dscnt 0x0
	v_cmpx_eq_u32_e64 v2, v8
; %bb.25:                               ;   in Loop: Header=BB12_3 Depth=1
	ds_load_b128 v[4:7], v24
; %bb.26:                               ;   in Loop: Header=BB12_3 Depth=1
	s_or_b32 exec_lo, exec_lo, s26
.LBB12_27:                              ;   in Loop: Header=BB12_3 Depth=1
	;; [unrolled: 60-line block ×4, first 2 shown]
	s_delay_alu instid0(SALU_CYCLE_1)
	s_or_b32 exec_lo, exec_lo, s11
	s_wait_dscnt 0x0
	s_barrier_signal -1
	s_barrier_wait -1
	ds_load_b128 v[8:11], v1
	s_wait_dscnt 0x0
	v_add_f64_e32 v[4:5], v[4:5], v[8:9]
	v_add_f64_e32 v[6:7], v[6:7], v[10:11]
	ds_store_b128 v1, v[4:7]
	s_wait_dscnt 0x0
	s_barrier_signal -1
	s_barrier_wait -1
	ds_load_b32 v2, v12
	v_mov_b32_e32 v4, -1
	s_and_saveexec_b32 s11, s10
; %bb.44:                               ;   in Loop: Header=BB12_3 Depth=1
	ds_load_b32 v4, v12 offset:4
; %bb.45:                               ;   in Loop: Header=BB12_3 Depth=1
	s_or_b32 exec_lo, exec_lo, s11
	s_wait_dscnt 0x0
	v_cmp_ne_u32_e32 vcc_lo, v2, v4
	v_cmp_lt_i32_e64 s11, -1, v2
	s_and_b32 s26, s11, vcc_lo
	s_delay_alu instid0(SALU_CYCLE_1)
	s_and_saveexec_b32 s11, s26
	s_cbranch_execz .LBB12_2
; %bb.46:                               ;   in Loop: Header=BB12_3 Depth=1
	s_and_b32 vcc_lo, exec_lo, s25
	s_mov_b32 s26, -1
	s_cbranch_vccz .LBB12_48
; %bb.47:                               ;   in Loop: Header=BB12_3 Depth=1
	v_mul_u64_e32 v[4:5], s[18:19], v[2:3]
	ds_load_b128 v[8:11], v1
	s_mov_b32 s26, 0
	v_lshl_add_u64 v[34:35], v[4:5], 4, s[20:21]
	global_load_b128 v[4:7], v[34:35], off
	s_wait_loadcnt_dscnt 0x0
	v_add_f64_e32 v[4:5], v[8:9], v[4:5]
	v_add_f64_e32 v[6:7], v[10:11], v[6:7]
	global_store_b128 v[34:35], v[4:7], off
.LBB12_48:                              ;   in Loop: Header=BB12_3 Depth=1
	s_and_not1_b32 vcc_lo, exec_lo, s26
	s_cbranch_vccnz .LBB12_2
; %bb.49:                               ;   in Loop: Header=BB12_3 Depth=1
	s_wait_xcnt 0x0
	v_lshl_add_u64 v[34:35], v[2:3], 4, s[16:17]
	ds_load_b128 v[8:11], v1
	global_load_b128 v[4:7], v[34:35], off
	s_wait_loadcnt_dscnt 0x0
	v_add_f64_e32 v[4:5], v[8:9], v[4:5]
	v_add_f64_e32 v[6:7], v[10:11], v[6:7]
	global_store_b128 v[34:35], v[4:7], off
	s_branch .LBB12_2
.LBB12_50:
	s_endpgm
	.section	.rodata,"a",@progbits
	.p2align	6, 0x0
	.amdhsa_kernel _ZN9rocsparseL28csrmmnn_general_block_reduceILj1024Eii21rocsparse_complex_numIdES2_EEvT0_PKT1_PKT3_PT2_l16rocsparse_order_
		.amdhsa_group_segment_fixed_size 20480
		.amdhsa_private_segment_fixed_size 0
		.amdhsa_kernarg_size 44
		.amdhsa_user_sgpr_count 2
		.amdhsa_user_sgpr_dispatch_ptr 0
		.amdhsa_user_sgpr_queue_ptr 0
		.amdhsa_user_sgpr_kernarg_segment_ptr 1
		.amdhsa_user_sgpr_dispatch_id 0
		.amdhsa_user_sgpr_kernarg_preload_length 0
		.amdhsa_user_sgpr_kernarg_preload_offset 0
		.amdhsa_user_sgpr_private_segment_size 0
		.amdhsa_wavefront_size32 1
		.amdhsa_uses_dynamic_stack 0
		.amdhsa_enable_private_segment 0
		.amdhsa_system_sgpr_workgroup_id_x 1
		.amdhsa_system_sgpr_workgroup_id_y 0
		.amdhsa_system_sgpr_workgroup_id_z 0
		.amdhsa_system_sgpr_workgroup_info 0
		.amdhsa_system_vgpr_workitem_id 0
		.amdhsa_next_free_vgpr 38
		.amdhsa_next_free_sgpr 28
		.amdhsa_named_barrier_count 0
		.amdhsa_reserve_vcc 1
		.amdhsa_float_round_mode_32 0
		.amdhsa_float_round_mode_16_64 0
		.amdhsa_float_denorm_mode_32 3
		.amdhsa_float_denorm_mode_16_64 3
		.amdhsa_fp16_overflow 0
		.amdhsa_memory_ordered 1
		.amdhsa_forward_progress 1
		.amdhsa_inst_pref_size 16
		.amdhsa_round_robin_scheduling 0
		.amdhsa_exception_fp_ieee_invalid_op 0
		.amdhsa_exception_fp_denorm_src 0
		.amdhsa_exception_fp_ieee_div_zero 0
		.amdhsa_exception_fp_ieee_overflow 0
		.amdhsa_exception_fp_ieee_underflow 0
		.amdhsa_exception_fp_ieee_inexact 0
		.amdhsa_exception_int_div_zero 0
	.end_amdhsa_kernel
	.section	.text._ZN9rocsparseL28csrmmnn_general_block_reduceILj1024Eii21rocsparse_complex_numIdES2_EEvT0_PKT1_PKT3_PT2_l16rocsparse_order_,"axG",@progbits,_ZN9rocsparseL28csrmmnn_general_block_reduceILj1024Eii21rocsparse_complex_numIdES2_EEvT0_PKT1_PKT3_PT2_l16rocsparse_order_,comdat
.Lfunc_end12:
	.size	_ZN9rocsparseL28csrmmnn_general_block_reduceILj1024Eii21rocsparse_complex_numIdES2_EEvT0_PKT1_PKT3_PT2_l16rocsparse_order_, .Lfunc_end12-_ZN9rocsparseL28csrmmnn_general_block_reduceILj1024Eii21rocsparse_complex_numIdES2_EEvT0_PKT1_PKT3_PT2_l16rocsparse_order_
                                        ; -- End function
	.set _ZN9rocsparseL28csrmmnn_general_block_reduceILj1024Eii21rocsparse_complex_numIdES2_EEvT0_PKT1_PKT3_PT2_l16rocsparse_order_.num_vgpr, 38
	.set _ZN9rocsparseL28csrmmnn_general_block_reduceILj1024Eii21rocsparse_complex_numIdES2_EEvT0_PKT1_PKT3_PT2_l16rocsparse_order_.num_agpr, 0
	.set _ZN9rocsparseL28csrmmnn_general_block_reduceILj1024Eii21rocsparse_complex_numIdES2_EEvT0_PKT1_PKT3_PT2_l16rocsparse_order_.numbered_sgpr, 28
	.set _ZN9rocsparseL28csrmmnn_general_block_reduceILj1024Eii21rocsparse_complex_numIdES2_EEvT0_PKT1_PKT3_PT2_l16rocsparse_order_.num_named_barrier, 0
	.set _ZN9rocsparseL28csrmmnn_general_block_reduceILj1024Eii21rocsparse_complex_numIdES2_EEvT0_PKT1_PKT3_PT2_l16rocsparse_order_.private_seg_size, 0
	.set _ZN9rocsparseL28csrmmnn_general_block_reduceILj1024Eii21rocsparse_complex_numIdES2_EEvT0_PKT1_PKT3_PT2_l16rocsparse_order_.uses_vcc, 1
	.set _ZN9rocsparseL28csrmmnn_general_block_reduceILj1024Eii21rocsparse_complex_numIdES2_EEvT0_PKT1_PKT3_PT2_l16rocsparse_order_.uses_flat_scratch, 0
	.set _ZN9rocsparseL28csrmmnn_general_block_reduceILj1024Eii21rocsparse_complex_numIdES2_EEvT0_PKT1_PKT3_PT2_l16rocsparse_order_.has_dyn_sized_stack, 0
	.set _ZN9rocsparseL28csrmmnn_general_block_reduceILj1024Eii21rocsparse_complex_numIdES2_EEvT0_PKT1_PKT3_PT2_l16rocsparse_order_.has_recursion, 0
	.set _ZN9rocsparseL28csrmmnn_general_block_reduceILj1024Eii21rocsparse_complex_numIdES2_EEvT0_PKT1_PKT3_PT2_l16rocsparse_order_.has_indirect_call, 0
	.section	.AMDGPU.csdata,"",@progbits
; Kernel info:
; codeLenInByte = 2040
; TotalNumSgprs: 30
; NumVgprs: 38
; ScratchSize: 0
; MemoryBound: 0
; FloatMode: 240
; IeeeMode: 1
; LDSByteSize: 20480 bytes/workgroup (compile time only)
; SGPRBlocks: 0
; VGPRBlocks: 2
; NumSGPRsForWavesPerEU: 30
; NumVGPRsForWavesPerEU: 38
; NamedBarCnt: 0
; Occupancy: 16
; WaveLimiterHint : 0
; COMPUTE_PGM_RSRC2:SCRATCH_EN: 0
; COMPUTE_PGM_RSRC2:USER_SGPR: 2
; COMPUTE_PGM_RSRC2:TRAP_HANDLER: 0
; COMPUTE_PGM_RSRC2:TGID_X_EN: 1
; COMPUTE_PGM_RSRC2:TGID_Y_EN: 0
; COMPUTE_PGM_RSRC2:TGID_Z_EN: 0
; COMPUTE_PGM_RSRC2:TIDIG_COMP_CNT: 0
	.section	.text._ZN9rocsparseL28csrmmnn_general_block_reduceILj1024Eli21rocsparse_complex_numIdES2_EEvT0_PKT1_PKT3_PT2_l16rocsparse_order_,"axG",@progbits,_ZN9rocsparseL28csrmmnn_general_block_reduceILj1024Eli21rocsparse_complex_numIdES2_EEvT0_PKT1_PKT3_PT2_l16rocsparse_order_,comdat
	.globl	_ZN9rocsparseL28csrmmnn_general_block_reduceILj1024Eli21rocsparse_complex_numIdES2_EEvT0_PKT1_PKT3_PT2_l16rocsparse_order_ ; -- Begin function _ZN9rocsparseL28csrmmnn_general_block_reduceILj1024Eli21rocsparse_complex_numIdES2_EEvT0_PKT1_PKT3_PT2_l16rocsparse_order_
	.p2align	8
	.type	_ZN9rocsparseL28csrmmnn_general_block_reduceILj1024Eli21rocsparse_complex_numIdES2_EEvT0_PKT1_PKT3_PT2_l16rocsparse_order_,@function
_ZN9rocsparseL28csrmmnn_general_block_reduceILj1024Eli21rocsparse_complex_numIdES2_EEvT0_PKT1_PKT3_PT2_l16rocsparse_order_: ; @_ZN9rocsparseL28csrmmnn_general_block_reduceILj1024Eli21rocsparse_complex_numIdES2_EEvT0_PKT1_PKT3_PT2_l16rocsparse_order_
; %bb.0:
	s_load_b64 s[20:21], s[0:1], 0x0
	v_dual_mov_b32 v1, 0 :: v_dual_lshlrev_b32 v2, 3, v0
	v_mov_b64_e32 v[8:9], -1
	v_lshlrev_b32_e32 v14, 4, v0
	s_mov_b32 s23, 0
	s_delay_alu instid0(VALU_DEP_3)
	v_dual_mov_b32 v4, v1 :: v_dual_mov_b32 v5, v1
	v_dual_mov_b32 v6, v1 :: v_dual_mov_b32 v7, v1
	ds_store_b64 v2, v[8:9] offset:16384
	ds_store_b128 v14, v[4:7]
	s_wait_dscnt 0x0
	s_barrier_signal -1
	s_barrier_wait -1
	s_mov_b32 s2, exec_lo
	s_wait_kmcnt 0x0
	v_cmpx_gt_i64_e64 s[20:21], v[0:1]
	s_cbranch_execz .LBB13_50
; %bb.1:
	s_clause 0x1
	s_load_b32 s10, s[0:1], 0x28
	s_load_b256 s[12:19], s[0:1], 0x8
	s_bfe_u32 s2, ttmp6, 0x4000c
	s_and_b32 s3, ttmp6, 15
	s_add_co_i32 s2, s2, 1
	s_getreg_b32 s4, hwreg(HW_REG_IB_STS2, 6, 4)
	s_mul_i32 s2, ttmp9, s2
	v_or_b32_e32 v15, 0x4000, v2
	s_add_co_i32 s3, s3, s2
	s_cmp_eq_u32 s4, 0
	v_lshlrev_b32_e32 v2, 4, v0
	s_cselect_b32 s22, ttmp9, s3
	v_add_nc_u32_e32 v18, -16, v15
	s_lshl_b64 s[26:27], s[22:23], 4
	v_dual_mov_b32 v3, v1 :: v_dual_add_nc_u32 v24, 0xffffff80, v15
	v_dual_mov_b32 v5, v1 :: v_dual_add_nc_u32 v26, 0xffffff00, v15
	v_lshlrev_b32_e32 v4, 2, v0
	s_wait_xcnt 0x0
	v_cmp_ne_u32_e64 s0, 0, v0
	s_wait_kmcnt 0x0
	s_cmp_lg_u32 s10, 1
	s_mul_u64 s[10:11], s[20:21], s[22:23]
	s_cselect_b32 s24, -1, 0
	s_lshl_b64 s[10:11], s[10:11], 4
	v_add_nc_u64_e32 v[12:13], s[12:13], v[4:5]
	s_add_nc_u64 s[10:11], s[14:15], s[10:11]
	s_mul_u64 s[12:13], s[18:19], s[22:23]
	v_add_nc_u64_e32 v[10:11], s[10:11], v[2:3]
	v_dual_add_nc_u32 v16, -8, v15 :: v_dual_add_nc_u32 v17, -16, v14
	v_cmp_lt_u32_e64 s1, 1, v0
	v_subrev_nc_u32_e32 v19, 32, v14
	v_cmp_lt_u32_e64 s2, 3, v0
	v_subrev_nc_u32_e32 v20, 32, v15
	v_subrev_nc_u32_e32 v21, 64, v14
	v_cmp_lt_u32_e64 s3, 7, v0
	v_subrev_nc_u32_e32 v22, 64, v15
	v_add_nc_u32_e32 v23, 0xffffff80, v14
	v_cmp_lt_u32_e64 s4, 15, v0
	v_add_nc_u32_e32 v25, 0xffffff00, v14
	v_cmp_lt_u32_e64 s5, 31, v0
	;; [unrolled: 2-line block ×3, first 2 shown]
	v_add_nc_u32_e32 v28, 0xfffffe00, v15
	v_add_nc_u32_e32 v29, 0xfffffc00, v14
	v_cmp_lt_u32_e64 s7, 0x7f, v0
	v_add_nc_u32_e32 v30, 0xfffffc00, v15
	v_add_nc_u32_e32 v31, 0xfffff800, v14
	v_cmp_lt_u32_e64 s8, 0xff, v0
	;; [unrolled: 3-line block ×3, first 2 shown]
	v_add_nc_u32_e32 v34, 0xfffff000, v15
	v_add_nc_u32_e32 v35, 0xffffe000, v14
	v_cmp_ne_u32_e64 s10, 0x3ff, v0
	s_lshl_b64 s[14:15], s[12:13], 4
	s_add_nc_u64 s[12:13], s[16:17], s[26:27]
	s_add_nc_u64 s[14:15], s[16:17], s[14:15]
	s_branch .LBB13_3
.LBB13_2:                               ;   in Loop: Header=BB13_3 Depth=1
	s_wait_xcnt 0x0
	s_or_b32 exec_lo, exec_lo, s11
	v_add_nc_u64_e32 v[0:1], 0x400, v[0:1]
	v_add_nc_u64_e32 v[10:11], 0x4000, v[10:11]
	;; [unrolled: 1-line block ×3, first 2 shown]
	s_wait_storecnt 0x0
	s_barrier_signal -1
	s_barrier_wait -1
	s_delay_alu instid0(VALU_DEP_3) | instskip(SKIP_1) | instid1(SALU_CYCLE_1)
	v_cmp_le_i64_e32 vcc_lo, s[20:21], v[0:1]
	s_or_b32 s23, vcc_lo, s23
	s_and_not1_b32 exec_lo, exec_lo, s23
	s_cbranch_execz .LBB13_50
.LBB13_3:                               ; =>This Inner Loop Header: Depth=1
	global_load_b32 v2, v[12:13], off
	global_load_b128 v[36:39], v[10:11], off
	v_mov_b64_e32 v[4:5], 0
	v_mov_b64_e32 v[8:9], 0
	;; [unrolled: 1-line block ×3, first 2 shown]
	s_wait_loadcnt 0x1
	v_ashrrev_i32_e32 v3, 31, v2
	ds_store_b64 v15, v[2:3]
	s_wait_loadcnt 0x0
	ds_store_2addr_b64 v14, v[36:37], v[38:39] offset1:1
	s_wait_dscnt 0x0
	s_barrier_signal -1
	s_barrier_wait -1
	s_and_saveexec_b32 s11, s0
	s_cbranch_execz .LBB13_7
; %bb.4:                                ;   in Loop: Header=BB13_3 Depth=1
	ds_load_2addr_b64 v[36:39], v16 offset1:1
	v_mov_b64_e32 v[6:7], 0
	v_mov_b64_e32 v[8:9], 0
	s_mov_b32 s16, exec_lo
	s_wait_dscnt 0x0
	v_cmpx_eq_u64_e64 v[38:39], v[36:37]
; %bb.5:                                ;   in Loop: Header=BB13_3 Depth=1
	ds_load_b128 v[6:9], v17
; %bb.6:                                ;   in Loop: Header=BB13_3 Depth=1
	s_or_b32 exec_lo, exec_lo, s16
.LBB13_7:                               ;   in Loop: Header=BB13_3 Depth=1
	s_delay_alu instid0(SALU_CYCLE_1)
	s_or_b32 exec_lo, exec_lo, s11
	s_wait_dscnt 0x0
	s_barrier_signal -1
	s_barrier_wait -1
	ds_load_b128 v[36:39], v14
	v_mov_b64_e32 v[2:3], 0
	s_wait_dscnt 0x0
	v_add_f64_e32 v[6:7], v[6:7], v[36:37]
	v_add_f64_e32 v[8:9], v[8:9], v[38:39]
	ds_store_b128 v14, v[6:9]
	s_wait_dscnt 0x0
	s_barrier_signal -1
	s_barrier_wait -1
	s_and_saveexec_b32 s11, s1
	s_cbranch_execz .LBB13_11
; %bb.8:                                ;   in Loop: Header=BB13_3 Depth=1
	ds_load_b64 v[4:5], v15
	ds_load_b64 v[6:7], v18
	v_mov_b64_e32 v[2:3], 0
	s_wait_dscnt 0x0
	v_cmp_eq_u64_e32 vcc_lo, v[4:5], v[6:7]
	v_mov_b64_e32 v[4:5], 0
	s_and_saveexec_b32 s16, vcc_lo
; %bb.9:                                ;   in Loop: Header=BB13_3 Depth=1
	ds_load_b128 v[2:5], v19
; %bb.10:                               ;   in Loop: Header=BB13_3 Depth=1
	s_or_b32 exec_lo, exec_lo, s16
.LBB13_11:                              ;   in Loop: Header=BB13_3 Depth=1
	s_delay_alu instid0(SALU_CYCLE_1)
	s_or_b32 exec_lo, exec_lo, s11
	s_wait_dscnt 0x0
	s_barrier_signal -1
	s_barrier_wait -1
	ds_load_b128 v[6:9], v14
	s_wait_dscnt 0x0
	v_add_f64_e32 v[36:37], v[2:3], v[6:7]
	v_add_f64_e32 v[38:39], v[4:5], v[8:9]
	v_mov_b64_e32 v[4:5], 0
	v_mov_b64_e32 v[8:9], 0
	v_mov_b64_e32 v[6:7], 0
	ds_store_b128 v14, v[36:39]
	s_wait_dscnt 0x0
	s_barrier_signal -1
	s_barrier_wait -1
	s_and_saveexec_b32 s11, s2
	s_cbranch_execz .LBB13_15
; %bb.12:                               ;   in Loop: Header=BB13_3 Depth=1
	ds_load_b64 v[2:3], v15
	ds_load_b64 v[8:9], v20
	v_mov_b64_e32 v[6:7], 0
	s_wait_dscnt 0x0
	v_cmp_eq_u64_e32 vcc_lo, v[2:3], v[8:9]
	v_mov_b64_e32 v[8:9], 0
	s_and_saveexec_b32 s16, vcc_lo
; %bb.13:                               ;   in Loop: Header=BB13_3 Depth=1
	ds_load_b128 v[6:9], v21
; %bb.14:                               ;   in Loop: Header=BB13_3 Depth=1
	s_or_b32 exec_lo, exec_lo, s16
.LBB13_15:                              ;   in Loop: Header=BB13_3 Depth=1
	s_delay_alu instid0(SALU_CYCLE_1)
	s_or_b32 exec_lo, exec_lo, s11
	s_wait_dscnt 0x0
	s_barrier_signal -1
	s_barrier_wait -1
	ds_load_b128 v[36:39], v14
	v_mov_b64_e32 v[2:3], 0
	s_wait_dscnt 0x0
	v_add_f64_e32 v[6:7], v[6:7], v[36:37]
	v_add_f64_e32 v[8:9], v[8:9], v[38:39]
	ds_store_b128 v14, v[6:9]
	s_wait_dscnt 0x0
	s_barrier_signal -1
	s_barrier_wait -1
	s_and_saveexec_b32 s11, s3
	s_cbranch_execz .LBB13_19
; %bb.16:                               ;   in Loop: Header=BB13_3 Depth=1
	ds_load_b64 v[4:5], v15
	ds_load_b64 v[6:7], v22
	v_mov_b64_e32 v[2:3], 0
	s_wait_dscnt 0x0
	v_cmp_eq_u64_e32 vcc_lo, v[4:5], v[6:7]
	v_mov_b64_e32 v[4:5], 0
	s_and_saveexec_b32 s16, vcc_lo
; %bb.17:                               ;   in Loop: Header=BB13_3 Depth=1
	ds_load_b128 v[2:5], v23
; %bb.18:                               ;   in Loop: Header=BB13_3 Depth=1
	s_or_b32 exec_lo, exec_lo, s16
.LBB13_19:                              ;   in Loop: Header=BB13_3 Depth=1
	s_delay_alu instid0(SALU_CYCLE_1)
	s_or_b32 exec_lo, exec_lo, s11
	s_wait_dscnt 0x0
	s_barrier_signal -1
	s_barrier_wait -1
	ds_load_b128 v[6:9], v14
	s_wait_dscnt 0x0
	v_add_f64_e32 v[36:37], v[2:3], v[6:7]
	v_add_f64_e32 v[38:39], v[4:5], v[8:9]
	v_mov_b64_e32 v[4:5], 0
	v_mov_b64_e32 v[8:9], 0
	v_mov_b64_e32 v[6:7], 0
	ds_store_b128 v14, v[36:39]
	s_wait_dscnt 0x0
	s_barrier_signal -1
	s_barrier_wait -1
	s_and_saveexec_b32 s11, s4
	s_cbranch_execz .LBB13_23
; %bb.20:                               ;   in Loop: Header=BB13_3 Depth=1
	ds_load_b64 v[2:3], v15
	ds_load_b64 v[8:9], v24
	v_mov_b64_e32 v[6:7], 0
	s_wait_dscnt 0x0
	v_cmp_eq_u64_e32 vcc_lo, v[2:3], v[8:9]
	v_mov_b64_e32 v[8:9], 0
	s_and_saveexec_b32 s16, vcc_lo
; %bb.21:                               ;   in Loop: Header=BB13_3 Depth=1
	ds_load_b128 v[6:9], v25
; %bb.22:                               ;   in Loop: Header=BB13_3 Depth=1
	s_or_b32 exec_lo, exec_lo, s16
.LBB13_23:                              ;   in Loop: Header=BB13_3 Depth=1
	s_delay_alu instid0(SALU_CYCLE_1)
	s_or_b32 exec_lo, exec_lo, s11
	s_wait_dscnt 0x0
	s_barrier_signal -1
	s_barrier_wait -1
	ds_load_b128 v[36:39], v14
	v_mov_b64_e32 v[2:3], 0
	s_wait_dscnt 0x0
	v_add_f64_e32 v[6:7], v[6:7], v[36:37]
	v_add_f64_e32 v[8:9], v[8:9], v[38:39]
	ds_store_b128 v14, v[6:9]
	s_wait_dscnt 0x0
	s_barrier_signal -1
	s_barrier_wait -1
	s_and_saveexec_b32 s11, s5
	s_cbranch_execz .LBB13_27
; %bb.24:                               ;   in Loop: Header=BB13_3 Depth=1
	ds_load_b64 v[4:5], v15
	ds_load_b64 v[6:7], v26
	v_mov_b64_e32 v[2:3], 0
	s_wait_dscnt 0x0
	v_cmp_eq_u64_e32 vcc_lo, v[4:5], v[6:7]
	v_mov_b64_e32 v[4:5], 0
	s_and_saveexec_b32 s16, vcc_lo
; %bb.25:                               ;   in Loop: Header=BB13_3 Depth=1
	ds_load_b128 v[2:5], v27
; %bb.26:                               ;   in Loop: Header=BB13_3 Depth=1
	s_or_b32 exec_lo, exec_lo, s16
.LBB13_27:                              ;   in Loop: Header=BB13_3 Depth=1
	;; [unrolled: 60-line block ×4, first 2 shown]
	s_delay_alu instid0(SALU_CYCLE_1)
	s_or_b32 exec_lo, exec_lo, s11
	s_wait_dscnt 0x0
	s_barrier_signal -1
	s_barrier_wait -1
	ds_load_b128 v[6:9], v14
	s_wait_dscnt 0x0
	v_add_f64_e32 v[2:3], v[2:3], v[6:7]
	v_add_f64_e32 v[4:5], v[4:5], v[8:9]
	ds_store_b128 v14, v[2:5]
	s_wait_dscnt 0x0
	s_barrier_signal -1
	s_barrier_wait -1
	ds_load_b64 v[2:3], v15
	v_mov_b64_e32 v[4:5], -1
	s_and_saveexec_b32 s11, s10
; %bb.44:                               ;   in Loop: Header=BB13_3 Depth=1
	ds_load_b64 v[4:5], v15 offset:8
; %bb.45:                               ;   in Loop: Header=BB13_3 Depth=1
	s_or_b32 exec_lo, exec_lo, s11
	s_wait_dscnt 0x0
	v_cmp_ne_u64_e32 vcc_lo, v[2:3], v[4:5]
	v_cmp_lt_i64_e64 s11, -1, v[2:3]
	s_and_b32 s16, s11, vcc_lo
	s_delay_alu instid0(SALU_CYCLE_1)
	s_and_saveexec_b32 s11, s16
	s_cbranch_execz .LBB13_2
; %bb.46:                               ;   in Loop: Header=BB13_3 Depth=1
	s_and_b32 vcc_lo, exec_lo, s24
	s_mov_b32 s16, -1
	s_cbranch_vccz .LBB13_48
; %bb.47:                               ;   in Loop: Header=BB13_3 Depth=1
	v_mul_u64_e32 v[4:5], s[18:19], v[2:3]
	ds_load_b128 v[36:39], v14
	s_mov_b32 s16, 0
	v_lshl_add_u64 v[8:9], v[4:5], 4, s[12:13]
	global_load_b128 v[4:7], v[8:9], off
	s_wait_loadcnt_dscnt 0x0
	v_add_f64_e32 v[4:5], v[36:37], v[4:5]
	v_add_f64_e32 v[6:7], v[38:39], v[6:7]
	global_store_b128 v[8:9], v[4:7], off
.LBB13_48:                              ;   in Loop: Header=BB13_3 Depth=1
	s_and_not1_b32 vcc_lo, exec_lo, s16
	s_cbranch_vccnz .LBB13_2
; %bb.49:                               ;   in Loop: Header=BB13_3 Depth=1
	v_lshl_add_u64 v[36:37], v[2:3], 4, s[14:15]
	s_wait_xcnt 0x0
	ds_load_b128 v[6:9], v14
	global_load_b128 v[2:5], v[36:37], off
	s_wait_loadcnt_dscnt 0x0
	v_add_f64_e32 v[2:3], v[6:7], v[2:3]
	v_add_f64_e32 v[4:5], v[8:9], v[4:5]
	global_store_b128 v[36:37], v[2:5], off
	s_branch .LBB13_2
.LBB13_50:
	s_endpgm
	.section	.rodata,"a",@progbits
	.p2align	6, 0x0
	.amdhsa_kernel _ZN9rocsparseL28csrmmnn_general_block_reduceILj1024Eli21rocsparse_complex_numIdES2_EEvT0_PKT1_PKT3_PT2_l16rocsparse_order_
		.amdhsa_group_segment_fixed_size 24576
		.amdhsa_private_segment_fixed_size 0
		.amdhsa_kernarg_size 44
		.amdhsa_user_sgpr_count 2
		.amdhsa_user_sgpr_dispatch_ptr 0
		.amdhsa_user_sgpr_queue_ptr 0
		.amdhsa_user_sgpr_kernarg_segment_ptr 1
		.amdhsa_user_sgpr_dispatch_id 0
		.amdhsa_user_sgpr_kernarg_preload_length 0
		.amdhsa_user_sgpr_kernarg_preload_offset 0
		.amdhsa_user_sgpr_private_segment_size 0
		.amdhsa_wavefront_size32 1
		.amdhsa_uses_dynamic_stack 0
		.amdhsa_enable_private_segment 0
		.amdhsa_system_sgpr_workgroup_id_x 1
		.amdhsa_system_sgpr_workgroup_id_y 0
		.amdhsa_system_sgpr_workgroup_id_z 0
		.amdhsa_system_sgpr_workgroup_info 0
		.amdhsa_system_vgpr_workitem_id 0
		.amdhsa_next_free_vgpr 40
		.amdhsa_next_free_sgpr 28
		.amdhsa_named_barrier_count 0
		.amdhsa_reserve_vcc 1
		.amdhsa_float_round_mode_32 0
		.amdhsa_float_round_mode_16_64 0
		.amdhsa_float_denorm_mode_32 3
		.amdhsa_float_denorm_mode_16_64 3
		.amdhsa_fp16_overflow 0
		.amdhsa_memory_ordered 1
		.amdhsa_forward_progress 1
		.amdhsa_inst_pref_size 16
		.amdhsa_round_robin_scheduling 0
		.amdhsa_exception_fp_ieee_invalid_op 0
		.amdhsa_exception_fp_denorm_src 0
		.amdhsa_exception_fp_ieee_div_zero 0
		.amdhsa_exception_fp_ieee_overflow 0
		.amdhsa_exception_fp_ieee_underflow 0
		.amdhsa_exception_fp_ieee_inexact 0
		.amdhsa_exception_int_div_zero 0
	.end_amdhsa_kernel
	.section	.text._ZN9rocsparseL28csrmmnn_general_block_reduceILj1024Eli21rocsparse_complex_numIdES2_EEvT0_PKT1_PKT3_PT2_l16rocsparse_order_,"axG",@progbits,_ZN9rocsparseL28csrmmnn_general_block_reduceILj1024Eli21rocsparse_complex_numIdES2_EEvT0_PKT1_PKT3_PT2_l16rocsparse_order_,comdat
.Lfunc_end13:
	.size	_ZN9rocsparseL28csrmmnn_general_block_reduceILj1024Eli21rocsparse_complex_numIdES2_EEvT0_PKT1_PKT3_PT2_l16rocsparse_order_, .Lfunc_end13-_ZN9rocsparseL28csrmmnn_general_block_reduceILj1024Eli21rocsparse_complex_numIdES2_EEvT0_PKT1_PKT3_PT2_l16rocsparse_order_
                                        ; -- End function
	.set _ZN9rocsparseL28csrmmnn_general_block_reduceILj1024Eli21rocsparse_complex_numIdES2_EEvT0_PKT1_PKT3_PT2_l16rocsparse_order_.num_vgpr, 40
	.set _ZN9rocsparseL28csrmmnn_general_block_reduceILj1024Eli21rocsparse_complex_numIdES2_EEvT0_PKT1_PKT3_PT2_l16rocsparse_order_.num_agpr, 0
	.set _ZN9rocsparseL28csrmmnn_general_block_reduceILj1024Eli21rocsparse_complex_numIdES2_EEvT0_PKT1_PKT3_PT2_l16rocsparse_order_.numbered_sgpr, 28
	.set _ZN9rocsparseL28csrmmnn_general_block_reduceILj1024Eli21rocsparse_complex_numIdES2_EEvT0_PKT1_PKT3_PT2_l16rocsparse_order_.num_named_barrier, 0
	.set _ZN9rocsparseL28csrmmnn_general_block_reduceILj1024Eli21rocsparse_complex_numIdES2_EEvT0_PKT1_PKT3_PT2_l16rocsparse_order_.private_seg_size, 0
	.set _ZN9rocsparseL28csrmmnn_general_block_reduceILj1024Eli21rocsparse_complex_numIdES2_EEvT0_PKT1_PKT3_PT2_l16rocsparse_order_.uses_vcc, 1
	.set _ZN9rocsparseL28csrmmnn_general_block_reduceILj1024Eli21rocsparse_complex_numIdES2_EEvT0_PKT1_PKT3_PT2_l16rocsparse_order_.uses_flat_scratch, 0
	.set _ZN9rocsparseL28csrmmnn_general_block_reduceILj1024Eli21rocsparse_complex_numIdES2_EEvT0_PKT1_PKT3_PT2_l16rocsparse_order_.has_dyn_sized_stack, 0
	.set _ZN9rocsparseL28csrmmnn_general_block_reduceILj1024Eli21rocsparse_complex_numIdES2_EEvT0_PKT1_PKT3_PT2_l16rocsparse_order_.has_recursion, 0
	.set _ZN9rocsparseL28csrmmnn_general_block_reduceILj1024Eli21rocsparse_complex_numIdES2_EEvT0_PKT1_PKT3_PT2_l16rocsparse_order_.has_indirect_call, 0
	.section	.AMDGPU.csdata,"",@progbits
; Kernel info:
; codeLenInByte = 2044
; TotalNumSgprs: 30
; NumVgprs: 40
; ScratchSize: 0
; MemoryBound: 0
; FloatMode: 240
; IeeeMode: 1
; LDSByteSize: 24576 bytes/workgroup (compile time only)
; SGPRBlocks: 0
; VGPRBlocks: 2
; NumSGPRsForWavesPerEU: 30
; NumVGPRsForWavesPerEU: 40
; NamedBarCnt: 0
; Occupancy: 16
; WaveLimiterHint : 0
; COMPUTE_PGM_RSRC2:SCRATCH_EN: 0
; COMPUTE_PGM_RSRC2:USER_SGPR: 2
; COMPUTE_PGM_RSRC2:TRAP_HANDLER: 0
; COMPUTE_PGM_RSRC2:TGID_X_EN: 1
; COMPUTE_PGM_RSRC2:TGID_Y_EN: 0
; COMPUTE_PGM_RSRC2:TGID_Z_EN: 0
; COMPUTE_PGM_RSRC2:TIDIG_COMP_CNT: 0
	.section	.text._ZN9rocsparseL28csrmmnn_general_block_reduceILj1024Ell21rocsparse_complex_numIdES2_EEvT0_PKT1_PKT3_PT2_l16rocsparse_order_,"axG",@progbits,_ZN9rocsparseL28csrmmnn_general_block_reduceILj1024Ell21rocsparse_complex_numIdES2_EEvT0_PKT1_PKT3_PT2_l16rocsparse_order_,comdat
	.globl	_ZN9rocsparseL28csrmmnn_general_block_reduceILj1024Ell21rocsparse_complex_numIdES2_EEvT0_PKT1_PKT3_PT2_l16rocsparse_order_ ; -- Begin function _ZN9rocsparseL28csrmmnn_general_block_reduceILj1024Ell21rocsparse_complex_numIdES2_EEvT0_PKT1_PKT3_PT2_l16rocsparse_order_
	.p2align	8
	.type	_ZN9rocsparseL28csrmmnn_general_block_reduceILj1024Ell21rocsparse_complex_numIdES2_EEvT0_PKT1_PKT3_PT2_l16rocsparse_order_,@function
_ZN9rocsparseL28csrmmnn_general_block_reduceILj1024Ell21rocsparse_complex_numIdES2_EEvT0_PKT1_PKT3_PT2_l16rocsparse_order_: ; @_ZN9rocsparseL28csrmmnn_general_block_reduceILj1024Ell21rocsparse_complex_numIdES2_EEvT0_PKT1_PKT3_PT2_l16rocsparse_order_
; %bb.0:
	s_load_b64 s[20:21], s[0:1], 0x0
	v_dual_mov_b32 v1, 0 :: v_dual_lshlrev_b32 v2, 3, v0
	v_mov_b64_e32 v[8:9], -1
	v_lshlrev_b32_e32 v14, 4, v0
	s_mov_b32 s23, 0
	s_delay_alu instid0(VALU_DEP_3)
	v_dual_mov_b32 v4, v1 :: v_dual_mov_b32 v5, v1
	v_dual_mov_b32 v6, v1 :: v_dual_mov_b32 v7, v1
	ds_store_b64 v2, v[8:9] offset:16384
	ds_store_b128 v14, v[4:7]
	s_wait_dscnt 0x0
	s_barrier_signal -1
	s_barrier_wait -1
	s_mov_b32 s2, exec_lo
	s_wait_kmcnt 0x0
	v_cmpx_gt_i64_e64 s[20:21], v[0:1]
	s_cbranch_execz .LBB14_50
; %bb.1:
	s_clause 0x1
	s_load_b32 s10, s[0:1], 0x28
	s_load_b256 s[12:19], s[0:1], 0x8
	s_bfe_u32 s2, ttmp6, 0x4000c
	s_and_b32 s3, ttmp6, 15
	s_add_co_i32 s2, s2, 1
	s_getreg_b32 s4, hwreg(HW_REG_IB_STS2, 6, 4)
	s_mul_i32 s2, ttmp9, s2
	v_or_b32_e32 v15, 0x4000, v2
	s_add_co_i32 s3, s3, s2
	s_cmp_eq_u32 s4, 0
	v_lshlrev_b32_e32 v2, 4, v0
	s_cselect_b32 s22, ttmp9, s3
	v_add_nc_u32_e32 v18, -16, v15
	s_lshl_b64 s[26:27], s[22:23], 4
	v_dual_mov_b32 v3, v1 :: v_dual_add_nc_u32 v24, 0xffffff80, v15
	v_dual_mov_b32 v5, v1 :: v_dual_add_nc_u32 v26, 0xffffff00, v15
	v_lshlrev_b32_e32 v4, 3, v0
	s_wait_xcnt 0x0
	v_cmp_ne_u32_e64 s0, 0, v0
	s_wait_kmcnt 0x0
	s_cmp_lg_u32 s10, 1
	s_mul_u64 s[10:11], s[20:21], s[22:23]
	s_cselect_b32 s24, -1, 0
	s_lshl_b64 s[10:11], s[10:11], 4
	v_add_nc_u64_e32 v[12:13], s[12:13], v[4:5]
	s_add_nc_u64 s[10:11], s[14:15], s[10:11]
	s_mul_u64 s[12:13], s[18:19], s[22:23]
	v_add_nc_u64_e32 v[10:11], s[10:11], v[2:3]
	v_dual_add_nc_u32 v16, -8, v15 :: v_dual_add_nc_u32 v17, -16, v14
	v_cmp_lt_u32_e64 s1, 1, v0
	v_subrev_nc_u32_e32 v19, 32, v14
	v_cmp_lt_u32_e64 s2, 3, v0
	v_subrev_nc_u32_e32 v20, 32, v15
	v_subrev_nc_u32_e32 v21, 64, v14
	v_cmp_lt_u32_e64 s3, 7, v0
	v_subrev_nc_u32_e32 v22, 64, v15
	v_add_nc_u32_e32 v23, 0xffffff80, v14
	v_cmp_lt_u32_e64 s4, 15, v0
	v_add_nc_u32_e32 v25, 0xffffff00, v14
	v_cmp_lt_u32_e64 s5, 31, v0
	;; [unrolled: 2-line block ×3, first 2 shown]
	v_add_nc_u32_e32 v28, 0xfffffe00, v15
	v_add_nc_u32_e32 v29, 0xfffffc00, v14
	v_cmp_lt_u32_e64 s7, 0x7f, v0
	v_add_nc_u32_e32 v30, 0xfffffc00, v15
	v_add_nc_u32_e32 v31, 0xfffff800, v14
	v_cmp_lt_u32_e64 s8, 0xff, v0
	;; [unrolled: 3-line block ×3, first 2 shown]
	v_add_nc_u32_e32 v34, 0xfffff000, v15
	v_add_nc_u32_e32 v35, 0xffffe000, v14
	v_cmp_ne_u32_e64 s10, 0x3ff, v0
	s_lshl_b64 s[14:15], s[12:13], 4
	s_add_nc_u64 s[12:13], s[16:17], s[26:27]
	s_add_nc_u64 s[14:15], s[16:17], s[14:15]
	s_branch .LBB14_3
.LBB14_2:                               ;   in Loop: Header=BB14_3 Depth=1
	s_wait_xcnt 0x0
	s_or_b32 exec_lo, exec_lo, s11
	v_add_nc_u64_e32 v[0:1], 0x400, v[0:1]
	v_add_nc_u64_e32 v[10:11], 0x4000, v[10:11]
	;; [unrolled: 1-line block ×3, first 2 shown]
	s_wait_storecnt 0x0
	s_barrier_signal -1
	s_barrier_wait -1
	s_delay_alu instid0(VALU_DEP_3) | instskip(SKIP_1) | instid1(SALU_CYCLE_1)
	v_cmp_le_i64_e32 vcc_lo, s[20:21], v[0:1]
	s_or_b32 s23, vcc_lo, s23
	s_and_not1_b32 exec_lo, exec_lo, s23
	s_cbranch_execz .LBB14_50
.LBB14_3:                               ; =>This Inner Loop Header: Depth=1
	global_load_b64 v[2:3], v[12:13], off
	global_load_b128 v[36:39], v[10:11], off
	v_mov_b64_e32 v[4:5], 0
	v_mov_b64_e32 v[8:9], 0
	;; [unrolled: 1-line block ×3, first 2 shown]
	s_wait_loadcnt 0x1
	ds_store_b64 v15, v[2:3]
	s_wait_loadcnt 0x0
	ds_store_2addr_b64 v14, v[36:37], v[38:39] offset1:1
	s_wait_dscnt 0x0
	s_barrier_signal -1
	s_barrier_wait -1
	s_and_saveexec_b32 s11, s0
	s_cbranch_execz .LBB14_7
; %bb.4:                                ;   in Loop: Header=BB14_3 Depth=1
	ds_load_2addr_b64 v[36:39], v16 offset1:1
	v_mov_b64_e32 v[6:7], 0
	v_mov_b64_e32 v[8:9], 0
	s_mov_b32 s16, exec_lo
	s_wait_dscnt 0x0
	v_cmpx_eq_u64_e64 v[38:39], v[36:37]
; %bb.5:                                ;   in Loop: Header=BB14_3 Depth=1
	ds_load_b128 v[6:9], v17
; %bb.6:                                ;   in Loop: Header=BB14_3 Depth=1
	s_or_b32 exec_lo, exec_lo, s16
.LBB14_7:                               ;   in Loop: Header=BB14_3 Depth=1
	s_delay_alu instid0(SALU_CYCLE_1)
	s_or_b32 exec_lo, exec_lo, s11
	s_wait_dscnt 0x0
	s_barrier_signal -1
	s_barrier_wait -1
	ds_load_b128 v[36:39], v14
	v_mov_b64_e32 v[2:3], 0
	s_wait_dscnt 0x0
	v_add_f64_e32 v[6:7], v[6:7], v[36:37]
	v_add_f64_e32 v[8:9], v[8:9], v[38:39]
	ds_store_b128 v14, v[6:9]
	s_wait_dscnt 0x0
	s_barrier_signal -1
	s_barrier_wait -1
	s_and_saveexec_b32 s11, s1
	s_cbranch_execz .LBB14_11
; %bb.8:                                ;   in Loop: Header=BB14_3 Depth=1
	ds_load_b64 v[4:5], v15
	ds_load_b64 v[6:7], v18
	v_mov_b64_e32 v[2:3], 0
	s_wait_dscnt 0x0
	v_cmp_eq_u64_e32 vcc_lo, v[4:5], v[6:7]
	v_mov_b64_e32 v[4:5], 0
	s_and_saveexec_b32 s16, vcc_lo
; %bb.9:                                ;   in Loop: Header=BB14_3 Depth=1
	ds_load_b128 v[2:5], v19
; %bb.10:                               ;   in Loop: Header=BB14_3 Depth=1
	s_or_b32 exec_lo, exec_lo, s16
.LBB14_11:                              ;   in Loop: Header=BB14_3 Depth=1
	s_delay_alu instid0(SALU_CYCLE_1)
	s_or_b32 exec_lo, exec_lo, s11
	s_wait_dscnt 0x0
	s_barrier_signal -1
	s_barrier_wait -1
	ds_load_b128 v[6:9], v14
	s_wait_dscnt 0x0
	v_add_f64_e32 v[36:37], v[2:3], v[6:7]
	v_add_f64_e32 v[38:39], v[4:5], v[8:9]
	v_mov_b64_e32 v[4:5], 0
	v_mov_b64_e32 v[8:9], 0
	v_mov_b64_e32 v[6:7], 0
	ds_store_b128 v14, v[36:39]
	s_wait_dscnt 0x0
	s_barrier_signal -1
	s_barrier_wait -1
	s_and_saveexec_b32 s11, s2
	s_cbranch_execz .LBB14_15
; %bb.12:                               ;   in Loop: Header=BB14_3 Depth=1
	ds_load_b64 v[2:3], v15
	ds_load_b64 v[8:9], v20
	v_mov_b64_e32 v[6:7], 0
	s_wait_dscnt 0x0
	v_cmp_eq_u64_e32 vcc_lo, v[2:3], v[8:9]
	v_mov_b64_e32 v[8:9], 0
	s_and_saveexec_b32 s16, vcc_lo
; %bb.13:                               ;   in Loop: Header=BB14_3 Depth=1
	ds_load_b128 v[6:9], v21
; %bb.14:                               ;   in Loop: Header=BB14_3 Depth=1
	s_or_b32 exec_lo, exec_lo, s16
.LBB14_15:                              ;   in Loop: Header=BB14_3 Depth=1
	s_delay_alu instid0(SALU_CYCLE_1)
	s_or_b32 exec_lo, exec_lo, s11
	s_wait_dscnt 0x0
	s_barrier_signal -1
	s_barrier_wait -1
	ds_load_b128 v[36:39], v14
	v_mov_b64_e32 v[2:3], 0
	s_wait_dscnt 0x0
	v_add_f64_e32 v[6:7], v[6:7], v[36:37]
	v_add_f64_e32 v[8:9], v[8:9], v[38:39]
	ds_store_b128 v14, v[6:9]
	s_wait_dscnt 0x0
	s_barrier_signal -1
	s_barrier_wait -1
	s_and_saveexec_b32 s11, s3
	s_cbranch_execz .LBB14_19
; %bb.16:                               ;   in Loop: Header=BB14_3 Depth=1
	ds_load_b64 v[4:5], v15
	ds_load_b64 v[6:7], v22
	v_mov_b64_e32 v[2:3], 0
	s_wait_dscnt 0x0
	v_cmp_eq_u64_e32 vcc_lo, v[4:5], v[6:7]
	v_mov_b64_e32 v[4:5], 0
	s_and_saveexec_b32 s16, vcc_lo
; %bb.17:                               ;   in Loop: Header=BB14_3 Depth=1
	ds_load_b128 v[2:5], v23
; %bb.18:                               ;   in Loop: Header=BB14_3 Depth=1
	s_or_b32 exec_lo, exec_lo, s16
.LBB14_19:                              ;   in Loop: Header=BB14_3 Depth=1
	s_delay_alu instid0(SALU_CYCLE_1)
	s_or_b32 exec_lo, exec_lo, s11
	s_wait_dscnt 0x0
	s_barrier_signal -1
	s_barrier_wait -1
	ds_load_b128 v[6:9], v14
	s_wait_dscnt 0x0
	v_add_f64_e32 v[36:37], v[2:3], v[6:7]
	v_add_f64_e32 v[38:39], v[4:5], v[8:9]
	v_mov_b64_e32 v[4:5], 0
	v_mov_b64_e32 v[8:9], 0
	v_mov_b64_e32 v[6:7], 0
	ds_store_b128 v14, v[36:39]
	s_wait_dscnt 0x0
	s_barrier_signal -1
	s_barrier_wait -1
	s_and_saveexec_b32 s11, s4
	s_cbranch_execz .LBB14_23
; %bb.20:                               ;   in Loop: Header=BB14_3 Depth=1
	ds_load_b64 v[2:3], v15
	ds_load_b64 v[8:9], v24
	v_mov_b64_e32 v[6:7], 0
	s_wait_dscnt 0x0
	v_cmp_eq_u64_e32 vcc_lo, v[2:3], v[8:9]
	v_mov_b64_e32 v[8:9], 0
	s_and_saveexec_b32 s16, vcc_lo
; %bb.21:                               ;   in Loop: Header=BB14_3 Depth=1
	ds_load_b128 v[6:9], v25
; %bb.22:                               ;   in Loop: Header=BB14_3 Depth=1
	s_or_b32 exec_lo, exec_lo, s16
.LBB14_23:                              ;   in Loop: Header=BB14_3 Depth=1
	s_delay_alu instid0(SALU_CYCLE_1)
	s_or_b32 exec_lo, exec_lo, s11
	s_wait_dscnt 0x0
	s_barrier_signal -1
	s_barrier_wait -1
	ds_load_b128 v[36:39], v14
	v_mov_b64_e32 v[2:3], 0
	s_wait_dscnt 0x0
	v_add_f64_e32 v[6:7], v[6:7], v[36:37]
	v_add_f64_e32 v[8:9], v[8:9], v[38:39]
	ds_store_b128 v14, v[6:9]
	s_wait_dscnt 0x0
	s_barrier_signal -1
	s_barrier_wait -1
	s_and_saveexec_b32 s11, s5
	s_cbranch_execz .LBB14_27
; %bb.24:                               ;   in Loop: Header=BB14_3 Depth=1
	ds_load_b64 v[4:5], v15
	ds_load_b64 v[6:7], v26
	v_mov_b64_e32 v[2:3], 0
	s_wait_dscnt 0x0
	v_cmp_eq_u64_e32 vcc_lo, v[4:5], v[6:7]
	v_mov_b64_e32 v[4:5], 0
	s_and_saveexec_b32 s16, vcc_lo
; %bb.25:                               ;   in Loop: Header=BB14_3 Depth=1
	ds_load_b128 v[2:5], v27
; %bb.26:                               ;   in Loop: Header=BB14_3 Depth=1
	s_or_b32 exec_lo, exec_lo, s16
.LBB14_27:                              ;   in Loop: Header=BB14_3 Depth=1
	;; [unrolled: 60-line block ×4, first 2 shown]
	s_delay_alu instid0(SALU_CYCLE_1)
	s_or_b32 exec_lo, exec_lo, s11
	s_wait_dscnt 0x0
	s_barrier_signal -1
	s_barrier_wait -1
	ds_load_b128 v[6:9], v14
	s_wait_dscnt 0x0
	v_add_f64_e32 v[2:3], v[2:3], v[6:7]
	v_add_f64_e32 v[4:5], v[4:5], v[8:9]
	ds_store_b128 v14, v[2:5]
	s_wait_dscnt 0x0
	s_barrier_signal -1
	s_barrier_wait -1
	ds_load_b64 v[2:3], v15
	v_mov_b64_e32 v[4:5], -1
	s_and_saveexec_b32 s11, s10
; %bb.44:                               ;   in Loop: Header=BB14_3 Depth=1
	ds_load_b64 v[4:5], v15 offset:8
; %bb.45:                               ;   in Loop: Header=BB14_3 Depth=1
	s_or_b32 exec_lo, exec_lo, s11
	s_wait_dscnt 0x0
	v_cmp_ne_u64_e32 vcc_lo, v[2:3], v[4:5]
	v_cmp_lt_i64_e64 s11, -1, v[2:3]
	s_and_b32 s16, s11, vcc_lo
	s_delay_alu instid0(SALU_CYCLE_1)
	s_and_saveexec_b32 s11, s16
	s_cbranch_execz .LBB14_2
; %bb.46:                               ;   in Loop: Header=BB14_3 Depth=1
	s_and_b32 vcc_lo, exec_lo, s24
	s_mov_b32 s16, -1
	s_cbranch_vccz .LBB14_48
; %bb.47:                               ;   in Loop: Header=BB14_3 Depth=1
	v_mul_u64_e32 v[4:5], s[18:19], v[2:3]
	ds_load_b128 v[36:39], v14
	s_mov_b32 s16, 0
	v_lshl_add_u64 v[8:9], v[4:5], 4, s[12:13]
	global_load_b128 v[4:7], v[8:9], off
	s_wait_loadcnt_dscnt 0x0
	v_add_f64_e32 v[4:5], v[36:37], v[4:5]
	v_add_f64_e32 v[6:7], v[38:39], v[6:7]
	global_store_b128 v[8:9], v[4:7], off
.LBB14_48:                              ;   in Loop: Header=BB14_3 Depth=1
	s_and_not1_b32 vcc_lo, exec_lo, s16
	s_cbranch_vccnz .LBB14_2
; %bb.49:                               ;   in Loop: Header=BB14_3 Depth=1
	v_lshl_add_u64 v[36:37], v[2:3], 4, s[14:15]
	s_wait_xcnt 0x0
	ds_load_b128 v[6:9], v14
	global_load_b128 v[2:5], v[36:37], off
	s_wait_loadcnt_dscnt 0x0
	v_add_f64_e32 v[2:3], v[6:7], v[2:3]
	v_add_f64_e32 v[4:5], v[8:9], v[4:5]
	global_store_b128 v[36:37], v[2:5], off
	s_branch .LBB14_2
.LBB14_50:
	s_endpgm
	.section	.rodata,"a",@progbits
	.p2align	6, 0x0
	.amdhsa_kernel _ZN9rocsparseL28csrmmnn_general_block_reduceILj1024Ell21rocsparse_complex_numIdES2_EEvT0_PKT1_PKT3_PT2_l16rocsparse_order_
		.amdhsa_group_segment_fixed_size 24576
		.amdhsa_private_segment_fixed_size 0
		.amdhsa_kernarg_size 44
		.amdhsa_user_sgpr_count 2
		.amdhsa_user_sgpr_dispatch_ptr 0
		.amdhsa_user_sgpr_queue_ptr 0
		.amdhsa_user_sgpr_kernarg_segment_ptr 1
		.amdhsa_user_sgpr_dispatch_id 0
		.amdhsa_user_sgpr_kernarg_preload_length 0
		.amdhsa_user_sgpr_kernarg_preload_offset 0
		.amdhsa_user_sgpr_private_segment_size 0
		.amdhsa_wavefront_size32 1
		.amdhsa_uses_dynamic_stack 0
		.amdhsa_enable_private_segment 0
		.amdhsa_system_sgpr_workgroup_id_x 1
		.amdhsa_system_sgpr_workgroup_id_y 0
		.amdhsa_system_sgpr_workgroup_id_z 0
		.amdhsa_system_sgpr_workgroup_info 0
		.amdhsa_system_vgpr_workitem_id 0
		.amdhsa_next_free_vgpr 40
		.amdhsa_next_free_sgpr 28
		.amdhsa_named_barrier_count 0
		.amdhsa_reserve_vcc 1
		.amdhsa_float_round_mode_32 0
		.amdhsa_float_round_mode_16_64 0
		.amdhsa_float_denorm_mode_32 3
		.amdhsa_float_denorm_mode_16_64 3
		.amdhsa_fp16_overflow 0
		.amdhsa_memory_ordered 1
		.amdhsa_forward_progress 1
		.amdhsa_inst_pref_size 16
		.amdhsa_round_robin_scheduling 0
		.amdhsa_exception_fp_ieee_invalid_op 0
		.amdhsa_exception_fp_denorm_src 0
		.amdhsa_exception_fp_ieee_div_zero 0
		.amdhsa_exception_fp_ieee_overflow 0
		.amdhsa_exception_fp_ieee_underflow 0
		.amdhsa_exception_fp_ieee_inexact 0
		.amdhsa_exception_int_div_zero 0
	.end_amdhsa_kernel
	.section	.text._ZN9rocsparseL28csrmmnn_general_block_reduceILj1024Ell21rocsparse_complex_numIdES2_EEvT0_PKT1_PKT3_PT2_l16rocsparse_order_,"axG",@progbits,_ZN9rocsparseL28csrmmnn_general_block_reduceILj1024Ell21rocsparse_complex_numIdES2_EEvT0_PKT1_PKT3_PT2_l16rocsparse_order_,comdat
.Lfunc_end14:
	.size	_ZN9rocsparseL28csrmmnn_general_block_reduceILj1024Ell21rocsparse_complex_numIdES2_EEvT0_PKT1_PKT3_PT2_l16rocsparse_order_, .Lfunc_end14-_ZN9rocsparseL28csrmmnn_general_block_reduceILj1024Ell21rocsparse_complex_numIdES2_EEvT0_PKT1_PKT3_PT2_l16rocsparse_order_
                                        ; -- End function
	.set _ZN9rocsparseL28csrmmnn_general_block_reduceILj1024Ell21rocsparse_complex_numIdES2_EEvT0_PKT1_PKT3_PT2_l16rocsparse_order_.num_vgpr, 40
	.set _ZN9rocsparseL28csrmmnn_general_block_reduceILj1024Ell21rocsparse_complex_numIdES2_EEvT0_PKT1_PKT3_PT2_l16rocsparse_order_.num_agpr, 0
	.set _ZN9rocsparseL28csrmmnn_general_block_reduceILj1024Ell21rocsparse_complex_numIdES2_EEvT0_PKT1_PKT3_PT2_l16rocsparse_order_.numbered_sgpr, 28
	.set _ZN9rocsparseL28csrmmnn_general_block_reduceILj1024Ell21rocsparse_complex_numIdES2_EEvT0_PKT1_PKT3_PT2_l16rocsparse_order_.num_named_barrier, 0
	.set _ZN9rocsparseL28csrmmnn_general_block_reduceILj1024Ell21rocsparse_complex_numIdES2_EEvT0_PKT1_PKT3_PT2_l16rocsparse_order_.private_seg_size, 0
	.set _ZN9rocsparseL28csrmmnn_general_block_reduceILj1024Ell21rocsparse_complex_numIdES2_EEvT0_PKT1_PKT3_PT2_l16rocsparse_order_.uses_vcc, 1
	.set _ZN9rocsparseL28csrmmnn_general_block_reduceILj1024Ell21rocsparse_complex_numIdES2_EEvT0_PKT1_PKT3_PT2_l16rocsparse_order_.uses_flat_scratch, 0
	.set _ZN9rocsparseL28csrmmnn_general_block_reduceILj1024Ell21rocsparse_complex_numIdES2_EEvT0_PKT1_PKT3_PT2_l16rocsparse_order_.has_dyn_sized_stack, 0
	.set _ZN9rocsparseL28csrmmnn_general_block_reduceILj1024Ell21rocsparse_complex_numIdES2_EEvT0_PKT1_PKT3_PT2_l16rocsparse_order_.has_recursion, 0
	.set _ZN9rocsparseL28csrmmnn_general_block_reduceILj1024Ell21rocsparse_complex_numIdES2_EEvT0_PKT1_PKT3_PT2_l16rocsparse_order_.has_indirect_call, 0
	.section	.AMDGPU.csdata,"",@progbits
; Kernel info:
; codeLenInByte = 2040
; TotalNumSgprs: 30
; NumVgprs: 40
; ScratchSize: 0
; MemoryBound: 0
; FloatMode: 240
; IeeeMode: 1
; LDSByteSize: 24576 bytes/workgroup (compile time only)
; SGPRBlocks: 0
; VGPRBlocks: 2
; NumSGPRsForWavesPerEU: 30
; NumVGPRsForWavesPerEU: 40
; NamedBarCnt: 0
; Occupancy: 16
; WaveLimiterHint : 0
; COMPUTE_PGM_RSRC2:SCRATCH_EN: 0
; COMPUTE_PGM_RSRC2:USER_SGPR: 2
; COMPUTE_PGM_RSRC2:TRAP_HANDLER: 0
; COMPUTE_PGM_RSRC2:TGID_X_EN: 1
; COMPUTE_PGM_RSRC2:TGID_Y_EN: 0
; COMPUTE_PGM_RSRC2:TGID_Z_EN: 0
; COMPUTE_PGM_RSRC2:TIDIG_COMP_CNT: 0
	.section	.text._ZN9rocsparseL28csrmmnn_general_block_reduceILj1024EiiiiEEvT0_PKT1_PKT3_PT2_l16rocsparse_order_,"axG",@progbits,_ZN9rocsparseL28csrmmnn_general_block_reduceILj1024EiiiiEEvT0_PKT1_PKT3_PT2_l16rocsparse_order_,comdat
	.globl	_ZN9rocsparseL28csrmmnn_general_block_reduceILj1024EiiiiEEvT0_PKT1_PKT3_PT2_l16rocsparse_order_ ; -- Begin function _ZN9rocsparseL28csrmmnn_general_block_reduceILj1024EiiiiEEvT0_PKT1_PKT3_PT2_l16rocsparse_order_
	.p2align	8
	.type	_ZN9rocsparseL28csrmmnn_general_block_reduceILj1024EiiiiEEvT0_PKT1_PKT3_PT2_l16rocsparse_order_,@function
_ZN9rocsparseL28csrmmnn_general_block_reduceILj1024EiiiiEEvT0_PKT1_PKT3_PT2_l16rocsparse_order_: ; @_ZN9rocsparseL28csrmmnn_general_block_reduceILj1024EiiiiEEvT0_PKT1_PKT3_PT2_l16rocsparse_order_
; %bb.0:
	s_load_b32 s22, s[0:1], 0x0
	v_dual_mov_b32 v2, -1 :: v_dual_lshlrev_b32 v1, 2, v0
	v_mov_b32_e32 v3, 0
	s_mov_b32 s2, exec_lo
	ds_store_2addr_stride64_b32 v1, v2, v3 offset1:16
	s_wait_dscnt 0x0
	s_barrier_signal -1
	s_barrier_wait -1
	s_wait_kmcnt 0x0
	v_cmpx_gt_i32_e64 s22, v0
	s_cbranch_execz .LBB15_50
; %bb.1:
	s_clause 0x1
	s_load_b32 s10, s[0:1], 0x28
	s_load_b256 s[12:19], s[0:1], 0x8
	s_bfe_u32 s2, ttmp6, 0x4000c
	s_and_b32 s3, ttmp6, 15
	s_add_co_i32 s2, s2, 1
	s_getreg_b32 s4, hwreg(HW_REG_IB_STS2, 6, 4)
	s_mul_i32 s2, ttmp9, s2
	v_or_b32_e32 v4, 0x1000, v1
	s_add_co_i32 s3, s3, s2
	s_cmp_eq_u32 s4, 0
	s_wait_xcnt 0x0
	v_cmp_ne_u32_e64 s0, 0, v0
	s_cselect_b32 s20, ttmp9, s3
	v_dual_add_nc_u32 v5, -4, v1 :: v_dual_add_nc_u32 v6, -4, v4
	v_cmp_lt_u32_e64 s1, 1, v0
	v_dual_add_nc_u32 v7, -8, v1 :: v_dual_add_nc_u32 v8, -8, v4
	v_cmp_lt_u32_e64 s2, 3, v0
	v_dual_add_nc_u32 v9, -16, v1 :: v_dual_add_nc_u32 v10, -16, v4
	s_wait_kmcnt 0x0
	s_cmp_lg_u32 s10, 1
	v_cmp_lt_u32_e64 s3, 7, v0
	s_cselect_b32 s25, -1, 0
	s_ashr_i32 s21, s20, 31
	v_subrev_nc_u32_e32 v11, 32, v1
	s_mul_u64 s[26:27], s[18:19], s[20:21]
	v_subrev_nc_u32_e32 v12, 32, v4
	v_cmp_lt_u32_e64 s4, 15, v0
	v_subrev_nc_u32_e32 v13, 64, v1
	v_subrev_nc_u32_e32 v14, 64, v4
	v_cmp_lt_u32_e64 s5, 31, v0
	v_add_nc_u32_e32 v15, 0xffffff80, v1
	v_add_nc_u32_e32 v16, 0xffffff80, v4
	v_cmp_lt_u32_e64 s6, 63, v0
	v_add_nc_u32_e32 v17, 0xffffff00, v1
	v_add_nc_u32_e32 v18, 0xffffff00, v4
	;; [unrolled: 3-line block ×5, first 2 shown]
	v_cmp_ne_u32_e64 s10, 0x3ff, v0
	s_mul_i32 s24, s22, s20
	s_lshl_b64 s[20:21], s[20:21], 2
	s_lshl_b64 s[26:27], s[26:27], 2
	s_mov_b32 s23, 0
	s_add_nc_u64 s[20:21], s[16:17], s[20:21]
	s_add_nc_u64 s[16:17], s[16:17], s[26:27]
	s_branch .LBB15_3
.LBB15_2:                               ;   in Loop: Header=BB15_3 Depth=1
	s_wait_xcnt 0x0
	s_or_b32 exec_lo, exec_lo, s11
	v_add_nc_u32_e32 v0, 0x400, v0
	s_wait_storecnt 0x0
	s_barrier_signal -1
	s_barrier_wait -1
	s_delay_alu instid0(VALU_DEP_1) | instskip(SKIP_1) | instid1(SALU_CYCLE_1)
	v_cmp_le_i32_e32 vcc_lo, s22, v0
	s_or_b32 s23, vcc_lo, s23
	s_and_not1_b32 exec_lo, exec_lo, s23
	s_cbranch_execz .LBB15_50
.LBB15_3:                               ; =>This Inner Loop Header: Depth=1
	v_dual_mov_b32 v25, 0 :: v_dual_add_nc_u32 v2, s24, v0
	global_load_b32 v26, v0, s[12:13] scale_offset
	global_load_b32 v27, v2, s[14:15] scale_offset
	s_wait_xcnt 0x0
	v_mov_b32_e32 v2, 0
	s_wait_loadcnt 0x1
	ds_store_b32 v1, v26
	s_wait_loadcnt 0x0
	ds_store_b32 v4, v27
	s_wait_dscnt 0x0
	s_barrier_signal -1
	s_barrier_wait -1
	s_and_saveexec_b32 s11, s0
	s_cbranch_execz .LBB15_7
; %bb.4:                                ;   in Loop: Header=BB15_3 Depth=1
	ds_load_2addr_b32 v[26:27], v5 offset1:1
	v_mov_b32_e32 v25, 0
	s_mov_b32 s26, exec_lo
	s_wait_dscnt 0x0
	v_cmpx_eq_u32_e64 v27, v26
; %bb.5:                                ;   in Loop: Header=BB15_3 Depth=1
	ds_load_b32 v25, v6
; %bb.6:                                ;   in Loop: Header=BB15_3 Depth=1
	s_or_b32 exec_lo, exec_lo, s26
.LBB15_7:                               ;   in Loop: Header=BB15_3 Depth=1
	s_delay_alu instid0(SALU_CYCLE_1)
	s_or_b32 exec_lo, exec_lo, s11
	s_wait_dscnt 0x0
	s_barrier_signal -1
	s_barrier_wait -1
	ds_load_b32 v26, v4
	s_wait_dscnt 0x0
	v_add_nc_u32_e32 v25, v26, v25
	ds_store_b32 v4, v25
	s_wait_dscnt 0x0
	s_barrier_signal -1
	s_barrier_wait -1
	s_and_saveexec_b32 s11, s1
	s_cbranch_execz .LBB15_11
; %bb.8:                                ;   in Loop: Header=BB15_3 Depth=1
	ds_load_b32 v2, v1
	ds_load_b32 v25, v7
	s_wait_dscnt 0x0
	v_cmp_eq_u32_e32 vcc_lo, v2, v25
	v_mov_b32_e32 v2, 0
	s_and_saveexec_b32 s26, vcc_lo
; %bb.9:                                ;   in Loop: Header=BB15_3 Depth=1
	ds_load_b32 v2, v8
; %bb.10:                               ;   in Loop: Header=BB15_3 Depth=1
	s_or_b32 exec_lo, exec_lo, s26
.LBB15_11:                              ;   in Loop: Header=BB15_3 Depth=1
	s_delay_alu instid0(SALU_CYCLE_1)
	s_or_b32 exec_lo, exec_lo, s11
	s_wait_dscnt 0x0
	s_barrier_signal -1
	s_barrier_wait -1
	ds_load_b32 v25, v4
	s_wait_dscnt 0x0
	v_dual_add_nc_u32 v26, v25, v2 :: v_dual_mov_b32 v2, 0
	v_mov_b32_e32 v25, 0
	ds_store_b32 v4, v26
	s_wait_dscnt 0x0
	s_barrier_signal -1
	s_barrier_wait -1
	s_and_saveexec_b32 s11, s2
	s_cbranch_execz .LBB15_15
; %bb.12:                               ;   in Loop: Header=BB15_3 Depth=1
	ds_load_b32 v25, v1
	ds_load_b32 v26, v9
	s_wait_dscnt 0x0
	v_cmp_eq_u32_e32 vcc_lo, v25, v26
	v_mov_b32_e32 v25, 0
	s_and_saveexec_b32 s26, vcc_lo
; %bb.13:                               ;   in Loop: Header=BB15_3 Depth=1
	ds_load_b32 v25, v10
; %bb.14:                               ;   in Loop: Header=BB15_3 Depth=1
	s_or_b32 exec_lo, exec_lo, s26
.LBB15_15:                              ;   in Loop: Header=BB15_3 Depth=1
	s_delay_alu instid0(SALU_CYCLE_1)
	s_or_b32 exec_lo, exec_lo, s11
	s_wait_dscnt 0x0
	s_barrier_signal -1
	s_barrier_wait -1
	ds_load_b32 v26, v4
	s_wait_dscnt 0x0
	v_add_nc_u32_e32 v25, v26, v25
	ds_store_b32 v4, v25
	s_wait_dscnt 0x0
	s_barrier_signal -1
	s_barrier_wait -1
	s_and_saveexec_b32 s11, s3
	s_cbranch_execz .LBB15_19
; %bb.16:                               ;   in Loop: Header=BB15_3 Depth=1
	ds_load_b32 v2, v1
	ds_load_b32 v25, v11
	s_wait_dscnt 0x0
	v_cmp_eq_u32_e32 vcc_lo, v2, v25
	v_mov_b32_e32 v2, 0
	s_and_saveexec_b32 s26, vcc_lo
; %bb.17:                               ;   in Loop: Header=BB15_3 Depth=1
	ds_load_b32 v2, v12
; %bb.18:                               ;   in Loop: Header=BB15_3 Depth=1
	s_or_b32 exec_lo, exec_lo, s26
.LBB15_19:                              ;   in Loop: Header=BB15_3 Depth=1
	s_delay_alu instid0(SALU_CYCLE_1)
	s_or_b32 exec_lo, exec_lo, s11
	s_wait_dscnt 0x0
	s_barrier_signal -1
	s_barrier_wait -1
	ds_load_b32 v25, v4
	s_wait_dscnt 0x0
	v_dual_add_nc_u32 v26, v25, v2 :: v_dual_mov_b32 v2, 0
	v_mov_b32_e32 v25, 0
	ds_store_b32 v4, v26
	s_wait_dscnt 0x0
	s_barrier_signal -1
	s_barrier_wait -1
	s_and_saveexec_b32 s11, s4
	s_cbranch_execz .LBB15_23
; %bb.20:                               ;   in Loop: Header=BB15_3 Depth=1
	ds_load_b32 v25, v1
	ds_load_b32 v26, v13
	s_wait_dscnt 0x0
	v_cmp_eq_u32_e32 vcc_lo, v25, v26
	v_mov_b32_e32 v25, 0
	s_and_saveexec_b32 s26, vcc_lo
; %bb.21:                               ;   in Loop: Header=BB15_3 Depth=1
	ds_load_b32 v25, v14
; %bb.22:                               ;   in Loop: Header=BB15_3 Depth=1
	s_or_b32 exec_lo, exec_lo, s26
.LBB15_23:                              ;   in Loop: Header=BB15_3 Depth=1
	s_delay_alu instid0(SALU_CYCLE_1)
	s_or_b32 exec_lo, exec_lo, s11
	s_wait_dscnt 0x0
	s_barrier_signal -1
	s_barrier_wait -1
	ds_load_b32 v26, v4
	s_wait_dscnt 0x0
	v_add_nc_u32_e32 v25, v26, v25
	ds_store_b32 v4, v25
	s_wait_dscnt 0x0
	s_barrier_signal -1
	s_barrier_wait -1
	s_and_saveexec_b32 s11, s5
	s_cbranch_execz .LBB15_27
; %bb.24:                               ;   in Loop: Header=BB15_3 Depth=1
	ds_load_b32 v2, v1
	ds_load_b32 v25, v15
	s_wait_dscnt 0x0
	v_cmp_eq_u32_e32 vcc_lo, v2, v25
	v_mov_b32_e32 v2, 0
	s_and_saveexec_b32 s26, vcc_lo
; %bb.25:                               ;   in Loop: Header=BB15_3 Depth=1
	ds_load_b32 v2, v16
; %bb.26:                               ;   in Loop: Header=BB15_3 Depth=1
	s_or_b32 exec_lo, exec_lo, s26
.LBB15_27:                              ;   in Loop: Header=BB15_3 Depth=1
	;; [unrolled: 53-line block ×4, first 2 shown]
	s_delay_alu instid0(SALU_CYCLE_1)
	s_or_b32 exec_lo, exec_lo, s11
	s_wait_dscnt 0x0
	s_barrier_signal -1
	s_barrier_wait -1
	ds_load_b32 v25, v4
	s_wait_dscnt 0x0
	v_dual_mov_b32 v25, -1 :: v_dual_add_nc_u32 v2, v25, v2
	ds_store_b32 v4, v2
	s_wait_dscnt 0x0
	s_barrier_signal -1
	s_barrier_wait -1
	ds_load_b32 v2, v1
	s_and_saveexec_b32 s11, s10
; %bb.44:                               ;   in Loop: Header=BB15_3 Depth=1
	ds_load_b32 v25, v1 offset:4
; %bb.45:                               ;   in Loop: Header=BB15_3 Depth=1
	s_or_b32 exec_lo, exec_lo, s11
	s_wait_dscnt 0x0
	v_cmp_ne_u32_e32 vcc_lo, v2, v25
	v_cmp_lt_i32_e64 s11, -1, v2
	s_and_b32 s26, s11, vcc_lo
	s_delay_alu instid0(SALU_CYCLE_1)
	s_and_saveexec_b32 s11, s26
	s_cbranch_execz .LBB15_2
; %bb.46:                               ;   in Loop: Header=BB15_3 Depth=1
	s_and_b32 vcc_lo, exec_lo, s25
	s_mov_b32 s26, -1
	s_cbranch_vccz .LBB15_48
; %bb.47:                               ;   in Loop: Header=BB15_3 Depth=1
	v_mul_u64_e32 v[26:27], s[18:19], v[2:3]
	ds_load_b32 v28, v4
	s_mov_b32 s26, 0
	v_lshl_add_u64 v[26:27], v[26:27], 2, s[20:21]
	global_load_b32 v25, v[26:27], off
	s_wait_loadcnt_dscnt 0x0
	v_add_nc_u32_e32 v25, v28, v25
	global_store_b32 v[26:27], v25, off
.LBB15_48:                              ;   in Loop: Header=BB15_3 Depth=1
	s_and_not1_b32 vcc_lo, exec_lo, s26
	s_cbranch_vccnz .LBB15_2
; %bb.49:                               ;   in Loop: Header=BB15_3 Depth=1
	s_wait_xcnt 0x0
	v_lshl_add_u64 v[26:27], v[2:3], 2, s[16:17]
	ds_load_b32 v25, v4
	global_load_b32 v2, v[26:27], off
	s_wait_loadcnt_dscnt 0x0
	v_add_nc_u32_e32 v2, v25, v2
	global_store_b32 v[26:27], v2, off
	s_branch .LBB15_2
.LBB15_50:
	s_endpgm
	.section	.rodata,"a",@progbits
	.p2align	6, 0x0
	.amdhsa_kernel _ZN9rocsparseL28csrmmnn_general_block_reduceILj1024EiiiiEEvT0_PKT1_PKT3_PT2_l16rocsparse_order_
		.amdhsa_group_segment_fixed_size 8192
		.amdhsa_private_segment_fixed_size 0
		.amdhsa_kernarg_size 44
		.amdhsa_user_sgpr_count 2
		.amdhsa_user_sgpr_dispatch_ptr 0
		.amdhsa_user_sgpr_queue_ptr 0
		.amdhsa_user_sgpr_kernarg_segment_ptr 1
		.amdhsa_user_sgpr_dispatch_id 0
		.amdhsa_user_sgpr_kernarg_preload_length 0
		.amdhsa_user_sgpr_kernarg_preload_offset 0
		.amdhsa_user_sgpr_private_segment_size 0
		.amdhsa_wavefront_size32 1
		.amdhsa_uses_dynamic_stack 0
		.amdhsa_enable_private_segment 0
		.amdhsa_system_sgpr_workgroup_id_x 1
		.amdhsa_system_sgpr_workgroup_id_y 0
		.amdhsa_system_sgpr_workgroup_id_z 0
		.amdhsa_system_sgpr_workgroup_info 0
		.amdhsa_system_vgpr_workitem_id 0
		.amdhsa_next_free_vgpr 29
		.amdhsa_next_free_sgpr 28
		.amdhsa_named_barrier_count 0
		.amdhsa_reserve_vcc 1
		.amdhsa_float_round_mode_32 0
		.amdhsa_float_round_mode_16_64 0
		.amdhsa_float_denorm_mode_32 3
		.amdhsa_float_denorm_mode_16_64 3
		.amdhsa_fp16_overflow 0
		.amdhsa_memory_ordered 1
		.amdhsa_forward_progress 1
		.amdhsa_inst_pref_size 15
		.amdhsa_round_robin_scheduling 0
		.amdhsa_exception_fp_ieee_invalid_op 0
		.amdhsa_exception_fp_denorm_src 0
		.amdhsa_exception_fp_ieee_div_zero 0
		.amdhsa_exception_fp_ieee_overflow 0
		.amdhsa_exception_fp_ieee_underflow 0
		.amdhsa_exception_fp_ieee_inexact 0
		.amdhsa_exception_int_div_zero 0
	.end_amdhsa_kernel
	.section	.text._ZN9rocsparseL28csrmmnn_general_block_reduceILj1024EiiiiEEvT0_PKT1_PKT3_PT2_l16rocsparse_order_,"axG",@progbits,_ZN9rocsparseL28csrmmnn_general_block_reduceILj1024EiiiiEEvT0_PKT1_PKT3_PT2_l16rocsparse_order_,comdat
.Lfunc_end15:
	.size	_ZN9rocsparseL28csrmmnn_general_block_reduceILj1024EiiiiEEvT0_PKT1_PKT3_PT2_l16rocsparse_order_, .Lfunc_end15-_ZN9rocsparseL28csrmmnn_general_block_reduceILj1024EiiiiEEvT0_PKT1_PKT3_PT2_l16rocsparse_order_
                                        ; -- End function
	.set _ZN9rocsparseL28csrmmnn_general_block_reduceILj1024EiiiiEEvT0_PKT1_PKT3_PT2_l16rocsparse_order_.num_vgpr, 29
	.set _ZN9rocsparseL28csrmmnn_general_block_reduceILj1024EiiiiEEvT0_PKT1_PKT3_PT2_l16rocsparse_order_.num_agpr, 0
	.set _ZN9rocsparseL28csrmmnn_general_block_reduceILj1024EiiiiEEvT0_PKT1_PKT3_PT2_l16rocsparse_order_.numbered_sgpr, 28
	.set _ZN9rocsparseL28csrmmnn_general_block_reduceILj1024EiiiiEEvT0_PKT1_PKT3_PT2_l16rocsparse_order_.num_named_barrier, 0
	.set _ZN9rocsparseL28csrmmnn_general_block_reduceILj1024EiiiiEEvT0_PKT1_PKT3_PT2_l16rocsparse_order_.private_seg_size, 0
	.set _ZN9rocsparseL28csrmmnn_general_block_reduceILj1024EiiiiEEvT0_PKT1_PKT3_PT2_l16rocsparse_order_.uses_vcc, 1
	.set _ZN9rocsparseL28csrmmnn_general_block_reduceILj1024EiiiiEEvT0_PKT1_PKT3_PT2_l16rocsparse_order_.uses_flat_scratch, 0
	.set _ZN9rocsparseL28csrmmnn_general_block_reduceILj1024EiiiiEEvT0_PKT1_PKT3_PT2_l16rocsparse_order_.has_dyn_sized_stack, 0
	.set _ZN9rocsparseL28csrmmnn_general_block_reduceILj1024EiiiiEEvT0_PKT1_PKT3_PT2_l16rocsparse_order_.has_recursion, 0
	.set _ZN9rocsparseL28csrmmnn_general_block_reduceILj1024EiiiiEEvT0_PKT1_PKT3_PT2_l16rocsparse_order_.has_indirect_call, 0
	.section	.AMDGPU.csdata,"",@progbits
; Kernel info:
; codeLenInByte = 1856
; TotalNumSgprs: 30
; NumVgprs: 29
; ScratchSize: 0
; MemoryBound: 0
; FloatMode: 240
; IeeeMode: 1
; LDSByteSize: 8192 bytes/workgroup (compile time only)
; SGPRBlocks: 0
; VGPRBlocks: 1
; NumSGPRsForWavesPerEU: 30
; NumVGPRsForWavesPerEU: 29
; NamedBarCnt: 0
; Occupancy: 16
; WaveLimiterHint : 0
; COMPUTE_PGM_RSRC2:SCRATCH_EN: 0
; COMPUTE_PGM_RSRC2:USER_SGPR: 2
; COMPUTE_PGM_RSRC2:TRAP_HANDLER: 0
; COMPUTE_PGM_RSRC2:TGID_X_EN: 1
; COMPUTE_PGM_RSRC2:TGID_Y_EN: 0
; COMPUTE_PGM_RSRC2:TGID_Z_EN: 0
; COMPUTE_PGM_RSRC2:TIDIG_COMP_CNT: 0
	.section	.text._ZN9rocsparseL28csrmmnn_general_block_reduceILj1024EliiiEEvT0_PKT1_PKT3_PT2_l16rocsparse_order_,"axG",@progbits,_ZN9rocsparseL28csrmmnn_general_block_reduceILj1024EliiiEEvT0_PKT1_PKT3_PT2_l16rocsparse_order_,comdat
	.globl	_ZN9rocsparseL28csrmmnn_general_block_reduceILj1024EliiiEEvT0_PKT1_PKT3_PT2_l16rocsparse_order_ ; -- Begin function _ZN9rocsparseL28csrmmnn_general_block_reduceILj1024EliiiEEvT0_PKT1_PKT3_PT2_l16rocsparse_order_
	.p2align	8
	.type	_ZN9rocsparseL28csrmmnn_general_block_reduceILj1024EliiiEEvT0_PKT1_PKT3_PT2_l16rocsparse_order_,@function
_ZN9rocsparseL28csrmmnn_general_block_reduceILj1024EliiiEEvT0_PKT1_PKT3_PT2_l16rocsparse_order_: ; @_ZN9rocsparseL28csrmmnn_general_block_reduceILj1024EliiiEEvT0_PKT1_PKT3_PT2_l16rocsparse_order_
; %bb.0:
	s_load_b64 s[20:21], s[0:1], 0x0
	v_mov_b64_e32 v[4:5], -1
	v_dual_mov_b32 v1, 0 :: v_dual_lshlrev_b32 v10, 3, v0
	v_lshlrev_b32_e32 v2, 2, v0
	s_mov_b32 s2, exec_lo
	ds_store_b64 v10, v[4:5]
	ds_store_b32 v2, v1 offset:8192
	s_wait_dscnt 0x0
	s_barrier_signal -1
	s_barrier_wait -1
	s_wait_kmcnt 0x0
	v_cmpx_gt_i64_e64 s[20:21], v[0:1]
	s_cbranch_execz .LBB16_50
; %bb.1:
	s_clause 0x1
	s_load_b32 s9, s[0:1], 0x28
	s_load_b256 s[12:19], s[0:1], 0x8
	s_bfe_u32 s2, ttmp6, 0x4000c
	s_and_b32 s3, ttmp6, 15
	s_add_co_i32 s2, s2, 1
	s_getreg_b32 s4, hwreg(HW_REG_IB_STS2, 6, 4)
	s_mul_i32 s2, ttmp9, s2
	v_or_b32_e32 v11, 0x2000, v2
	s_add_co_i32 s3, s3, s2
	s_cmp_eq_u32 s4, 0
	s_mov_b32 s23, 0
	s_cselect_b32 s22, ttmp9, s3
	v_dual_add_nc_u32 v17, -16, v11 :: v_dual_lshlrev_b32 v4, 2, v0
	s_lshl_b64 s[26:27], s[22:23], 2
	s_mul_u64 s[10:11], s[20:21], s[22:23]
	v_dual_mov_b32 v5, v1 :: v_dual_add_nc_u32 v20, 0xffffff80, v10
	s_wait_xcnt 0x0
	v_cmp_ne_u32_e64 s0, 0, v0
	v_dual_add_nc_u32 v12, -8, v10 :: v_dual_add_nc_u32 v13, -4, v11
	s_wait_kmcnt 0x0
	s_cmp_lg_u32 s9, 1
	v_cmp_lt_u32_e64 s1, 1, v0
	s_cselect_b32 s24, -1, 0
	s_lshl_b64 s[10:11], s[10:11], 2
	v_dual_add_nc_u32 v14, -16, v10 :: v_dual_add_nc_u32 v15, -8, v11
	s_add_nc_u64 s[10:11], s[14:15], s[10:11]
	v_cmp_lt_u32_e64 s2, 3, v0
	v_add_nc_u64_e32 v[2:3], s[10:11], v[4:5]
	v_add_nc_u64_e32 v[4:5], s[12:13], v[4:5]
	s_mul_u64 s[12:13], s[18:19], s[22:23]
	v_subrev_nc_u32_e32 v16, 32, v10
	v_cmp_lt_u32_e64 s3, 7, v0
	v_subrev_nc_u32_e32 v18, 64, v10
	v_subrev_nc_u32_e32 v19, 32, v11
	v_cmp_lt_u32_e64 s4, 15, v0
	v_subrev_nc_u32_e32 v21, 64, v11
	v_cmp_lt_u32_e64 s5, 31, v0
	v_add_nc_u32_e32 v22, 0xffffff00, v10
	v_add_nc_u32_e32 v23, 0xffffff80, v11
	v_cmp_lt_u32_e64 s6, 63, v0
	v_add_nc_u32_e32 v24, 0xfffffe00, v10
	v_add_nc_u32_e32 v25, 0xffffff00, v11
	;; [unrolled: 3-line block ×5, first 2 shown]
	v_cmp_ne_u32_e64 s10, 0x3ff, v0
	s_lshl_b64 s[14:15], s[12:13], 2
	s_add_nc_u64 s[12:13], s[16:17], s[26:27]
	s_add_nc_u64 s[14:15], s[16:17], s[14:15]
	s_branch .LBB16_3
.LBB16_2:                               ;   in Loop: Header=BB16_3 Depth=1
	s_wait_xcnt 0x0
	s_or_b32 exec_lo, exec_lo, s11
	v_add_nc_u64_e32 v[0:1], 0x400, v[0:1]
	v_add_nc_u64_e32 v[2:3], 0x1000, v[2:3]
	;; [unrolled: 1-line block ×3, first 2 shown]
	s_wait_storecnt 0x0
	s_barrier_signal -1
	s_barrier_wait -1
	s_delay_alu instid0(VALU_DEP_3) | instskip(SKIP_1) | instid1(SALU_CYCLE_1)
	v_cmp_le_i64_e32 vcc_lo, s[20:21], v[0:1]
	s_or_b32 s23, vcc_lo, s23
	s_and_not1_b32 exec_lo, exec_lo, s23
	s_cbranch_execz .LBB16_50
.LBB16_3:                               ; =>This Inner Loop Header: Depth=1
	global_load_b32 v8, v[4:5], off
	global_load_b32 v32, v[2:3], off
	v_dual_mov_b32 v7, 0 :: v_dual_mov_b32 v6, 0
	s_wait_loadcnt 0x1
	v_ashrrev_i32_e32 v9, 31, v8
	ds_store_b64 v10, v[8:9]
	s_wait_loadcnt 0x0
	ds_store_b32 v11, v32
	s_wait_dscnt 0x0
	s_barrier_signal -1
	s_barrier_wait -1
	s_and_saveexec_b32 s11, s0
	s_cbranch_execz .LBB16_7
; %bb.4:                                ;   in Loop: Header=BB16_3 Depth=1
	ds_load_2addr_b64 v[32:35], v12 offset1:1
	v_mov_b32_e32 v7, 0
	s_mov_b32 s16, exec_lo
	s_wait_dscnt 0x0
	v_cmpx_eq_u64_e64 v[34:35], v[32:33]
; %bb.5:                                ;   in Loop: Header=BB16_3 Depth=1
	ds_load_b32 v7, v13
; %bb.6:                                ;   in Loop: Header=BB16_3 Depth=1
	s_or_b32 exec_lo, exec_lo, s16
.LBB16_7:                               ;   in Loop: Header=BB16_3 Depth=1
	s_delay_alu instid0(SALU_CYCLE_1)
	s_or_b32 exec_lo, exec_lo, s11
	s_wait_dscnt 0x0
	s_barrier_signal -1
	s_barrier_wait -1
	ds_load_b32 v8, v11
	s_wait_dscnt 0x0
	v_add_nc_u32_e32 v7, v8, v7
	ds_store_b32 v11, v7
	s_wait_dscnt 0x0
	s_barrier_signal -1
	s_barrier_wait -1
	s_and_saveexec_b32 s11, s1
	s_cbranch_execz .LBB16_11
; %bb.8:                                ;   in Loop: Header=BB16_3 Depth=1
	ds_load_b64 v[6:7], v10
	ds_load_b64 v[8:9], v14
	s_wait_dscnt 0x0
	v_cmp_eq_u64_e32 vcc_lo, v[6:7], v[8:9]
	v_mov_b32_e32 v6, 0
	s_and_saveexec_b32 s16, vcc_lo
; %bb.9:                                ;   in Loop: Header=BB16_3 Depth=1
	ds_load_b32 v6, v15
; %bb.10:                               ;   in Loop: Header=BB16_3 Depth=1
	s_or_b32 exec_lo, exec_lo, s16
.LBB16_11:                              ;   in Loop: Header=BB16_3 Depth=1
	s_delay_alu instid0(SALU_CYCLE_1)
	s_or_b32 exec_lo, exec_lo, s11
	s_wait_dscnt 0x0
	s_barrier_signal -1
	s_barrier_wait -1
	ds_load_b32 v7, v11
	s_wait_dscnt 0x0
	v_dual_add_nc_u32 v8, v7, v6 :: v_dual_mov_b32 v6, 0
	v_mov_b32_e32 v7, 0
	ds_store_b32 v11, v8
	s_wait_dscnt 0x0
	s_barrier_signal -1
	s_barrier_wait -1
	s_and_saveexec_b32 s11, s2
	s_cbranch_execz .LBB16_15
; %bb.12:                               ;   in Loop: Header=BB16_3 Depth=1
	ds_load_b64 v[8:9], v10
	ds_load_b64 v[32:33], v16
	v_mov_b32_e32 v7, 0
	s_mov_b32 s16, exec_lo
	s_wait_dscnt 0x0
	v_cmpx_eq_u64_e64 v[8:9], v[32:33]
; %bb.13:                               ;   in Loop: Header=BB16_3 Depth=1
	ds_load_b32 v7, v17
; %bb.14:                               ;   in Loop: Header=BB16_3 Depth=1
	s_or_b32 exec_lo, exec_lo, s16
.LBB16_15:                              ;   in Loop: Header=BB16_3 Depth=1
	s_delay_alu instid0(SALU_CYCLE_1)
	s_or_b32 exec_lo, exec_lo, s11
	s_wait_dscnt 0x0
	s_barrier_signal -1
	s_barrier_wait -1
	ds_load_b32 v8, v11
	s_wait_dscnt 0x0
	v_add_nc_u32_e32 v7, v8, v7
	ds_store_b32 v11, v7
	s_wait_dscnt 0x0
	s_barrier_signal -1
	s_barrier_wait -1
	s_and_saveexec_b32 s11, s3
	s_cbranch_execz .LBB16_19
; %bb.16:                               ;   in Loop: Header=BB16_3 Depth=1
	ds_load_b64 v[6:7], v10
	ds_load_b64 v[8:9], v18
	s_wait_dscnt 0x0
	v_cmp_eq_u64_e32 vcc_lo, v[6:7], v[8:9]
	v_mov_b32_e32 v6, 0
	s_and_saveexec_b32 s16, vcc_lo
; %bb.17:                               ;   in Loop: Header=BB16_3 Depth=1
	ds_load_b32 v6, v19
; %bb.18:                               ;   in Loop: Header=BB16_3 Depth=1
	s_or_b32 exec_lo, exec_lo, s16
.LBB16_19:                              ;   in Loop: Header=BB16_3 Depth=1
	s_delay_alu instid0(SALU_CYCLE_1)
	s_or_b32 exec_lo, exec_lo, s11
	s_wait_dscnt 0x0
	s_barrier_signal -1
	s_barrier_wait -1
	ds_load_b32 v7, v11
	s_wait_dscnt 0x0
	v_dual_add_nc_u32 v8, v7, v6 :: v_dual_mov_b32 v6, 0
	v_mov_b32_e32 v7, 0
	ds_store_b32 v11, v8
	s_wait_dscnt 0x0
	s_barrier_signal -1
	s_barrier_wait -1
	s_and_saveexec_b32 s11, s4
	s_cbranch_execz .LBB16_23
; %bb.20:                               ;   in Loop: Header=BB16_3 Depth=1
	ds_load_b64 v[8:9], v10
	ds_load_b64 v[32:33], v20
	v_mov_b32_e32 v7, 0
	s_mov_b32 s16, exec_lo
	s_wait_dscnt 0x0
	v_cmpx_eq_u64_e64 v[8:9], v[32:33]
; %bb.21:                               ;   in Loop: Header=BB16_3 Depth=1
	ds_load_b32 v7, v21
; %bb.22:                               ;   in Loop: Header=BB16_3 Depth=1
	s_or_b32 exec_lo, exec_lo, s16
.LBB16_23:                              ;   in Loop: Header=BB16_3 Depth=1
	s_delay_alu instid0(SALU_CYCLE_1)
	s_or_b32 exec_lo, exec_lo, s11
	s_wait_dscnt 0x0
	s_barrier_signal -1
	s_barrier_wait -1
	ds_load_b32 v8, v11
	s_wait_dscnt 0x0
	v_add_nc_u32_e32 v7, v8, v7
	ds_store_b32 v11, v7
	s_wait_dscnt 0x0
	s_barrier_signal -1
	s_barrier_wait -1
	s_and_saveexec_b32 s11, s5
	s_cbranch_execz .LBB16_27
; %bb.24:                               ;   in Loop: Header=BB16_3 Depth=1
	ds_load_b64 v[6:7], v10
	ds_load_b64 v[8:9], v22
	s_wait_dscnt 0x0
	v_cmp_eq_u64_e32 vcc_lo, v[6:7], v[8:9]
	v_mov_b32_e32 v6, 0
	s_and_saveexec_b32 s16, vcc_lo
; %bb.25:                               ;   in Loop: Header=BB16_3 Depth=1
	ds_load_b32 v6, v23
; %bb.26:                               ;   in Loop: Header=BB16_3 Depth=1
	s_or_b32 exec_lo, exec_lo, s16
.LBB16_27:                              ;   in Loop: Header=BB16_3 Depth=1
	;; [unrolled: 53-line block ×4, first 2 shown]
	s_delay_alu instid0(SALU_CYCLE_1)
	s_or_b32 exec_lo, exec_lo, s11
	s_wait_dscnt 0x0
	s_barrier_signal -1
	s_barrier_wait -1
	ds_load_b32 v7, v11
	v_mov_b64_e32 v[8:9], -1
	s_wait_dscnt 0x0
	v_add_nc_u32_e32 v6, v7, v6
	ds_store_b32 v11, v6
	s_wait_dscnt 0x0
	s_barrier_signal -1
	s_barrier_wait -1
	ds_load_b64 v[6:7], v10
	s_and_saveexec_b32 s11, s10
; %bb.44:                               ;   in Loop: Header=BB16_3 Depth=1
	ds_load_b64 v[8:9], v10 offset:8
; %bb.45:                               ;   in Loop: Header=BB16_3 Depth=1
	s_or_b32 exec_lo, exec_lo, s11
	s_wait_dscnt 0x0
	v_cmp_ne_u64_e32 vcc_lo, v[6:7], v[8:9]
	v_cmp_lt_i64_e64 s11, -1, v[6:7]
	s_and_b32 s16, s11, vcc_lo
	s_delay_alu instid0(SALU_CYCLE_1)
	s_and_saveexec_b32 s11, s16
	s_cbranch_execz .LBB16_2
; %bb.46:                               ;   in Loop: Header=BB16_3 Depth=1
	s_and_b32 vcc_lo, exec_lo, s24
	s_mov_b32 s16, -1
	s_cbranch_vccz .LBB16_48
; %bb.47:                               ;   in Loop: Header=BB16_3 Depth=1
	v_mul_u64_e32 v[8:9], s[18:19], v[6:7]
	ds_load_b32 v33, v11
	s_mov_b32 s16, 0
	v_lshl_add_u64 v[8:9], v[8:9], 2, s[12:13]
	global_load_b32 v32, v[8:9], off
	s_wait_loadcnt_dscnt 0x0
	v_add_nc_u32_e32 v32, v33, v32
	global_store_b32 v[8:9], v32, off
.LBB16_48:                              ;   in Loop: Header=BB16_3 Depth=1
	s_and_not1_b32 vcc_lo, exec_lo, s16
	s_cbranch_vccnz .LBB16_2
; %bb.49:                               ;   in Loop: Header=BB16_3 Depth=1
	v_lshl_add_u64 v[6:7], v[6:7], 2, s[14:15]
	s_wait_xcnt 0x0
	ds_load_b32 v9, v11
	global_load_b32 v8, v[6:7], off
	s_wait_loadcnt_dscnt 0x0
	v_add_nc_u32_e32 v8, v9, v8
	global_store_b32 v[6:7], v8, off
	s_branch .LBB16_2
.LBB16_50:
	s_endpgm
	.section	.rodata,"a",@progbits
	.p2align	6, 0x0
	.amdhsa_kernel _ZN9rocsparseL28csrmmnn_general_block_reduceILj1024EliiiEEvT0_PKT1_PKT3_PT2_l16rocsparse_order_
		.amdhsa_group_segment_fixed_size 12288
		.amdhsa_private_segment_fixed_size 0
		.amdhsa_kernarg_size 44
		.amdhsa_user_sgpr_count 2
		.amdhsa_user_sgpr_dispatch_ptr 0
		.amdhsa_user_sgpr_queue_ptr 0
		.amdhsa_user_sgpr_kernarg_segment_ptr 1
		.amdhsa_user_sgpr_dispatch_id 0
		.amdhsa_user_sgpr_kernarg_preload_length 0
		.amdhsa_user_sgpr_kernarg_preload_offset 0
		.amdhsa_user_sgpr_private_segment_size 0
		.amdhsa_wavefront_size32 1
		.amdhsa_uses_dynamic_stack 0
		.amdhsa_enable_private_segment 0
		.amdhsa_system_sgpr_workgroup_id_x 1
		.amdhsa_system_sgpr_workgroup_id_y 0
		.amdhsa_system_sgpr_workgroup_id_z 0
		.amdhsa_system_sgpr_workgroup_info 0
		.amdhsa_system_vgpr_workitem_id 0
		.amdhsa_next_free_vgpr 36
		.amdhsa_next_free_sgpr 28
		.amdhsa_named_barrier_count 0
		.amdhsa_reserve_vcc 1
		.amdhsa_float_round_mode_32 0
		.amdhsa_float_round_mode_16_64 0
		.amdhsa_float_denorm_mode_32 3
		.amdhsa_float_denorm_mode_16_64 3
		.amdhsa_fp16_overflow 0
		.amdhsa_memory_ordered 1
		.amdhsa_forward_progress 1
		.amdhsa_inst_pref_size 15
		.amdhsa_round_robin_scheduling 0
		.amdhsa_exception_fp_ieee_invalid_op 0
		.amdhsa_exception_fp_denorm_src 0
		.amdhsa_exception_fp_ieee_div_zero 0
		.amdhsa_exception_fp_ieee_overflow 0
		.amdhsa_exception_fp_ieee_underflow 0
		.amdhsa_exception_fp_ieee_inexact 0
		.amdhsa_exception_int_div_zero 0
	.end_amdhsa_kernel
	.section	.text._ZN9rocsparseL28csrmmnn_general_block_reduceILj1024EliiiEEvT0_PKT1_PKT3_PT2_l16rocsparse_order_,"axG",@progbits,_ZN9rocsparseL28csrmmnn_general_block_reduceILj1024EliiiEEvT0_PKT1_PKT3_PT2_l16rocsparse_order_,comdat
.Lfunc_end16:
	.size	_ZN9rocsparseL28csrmmnn_general_block_reduceILj1024EliiiEEvT0_PKT1_PKT3_PT2_l16rocsparse_order_, .Lfunc_end16-_ZN9rocsparseL28csrmmnn_general_block_reduceILj1024EliiiEEvT0_PKT1_PKT3_PT2_l16rocsparse_order_
                                        ; -- End function
	.set _ZN9rocsparseL28csrmmnn_general_block_reduceILj1024EliiiEEvT0_PKT1_PKT3_PT2_l16rocsparse_order_.num_vgpr, 36
	.set _ZN9rocsparseL28csrmmnn_general_block_reduceILj1024EliiiEEvT0_PKT1_PKT3_PT2_l16rocsparse_order_.num_agpr, 0
	.set _ZN9rocsparseL28csrmmnn_general_block_reduceILj1024EliiiEEvT0_PKT1_PKT3_PT2_l16rocsparse_order_.numbered_sgpr, 28
	.set _ZN9rocsparseL28csrmmnn_general_block_reduceILj1024EliiiEEvT0_PKT1_PKT3_PT2_l16rocsparse_order_.num_named_barrier, 0
	.set _ZN9rocsparseL28csrmmnn_general_block_reduceILj1024EliiiEEvT0_PKT1_PKT3_PT2_l16rocsparse_order_.private_seg_size, 0
	.set _ZN9rocsparseL28csrmmnn_general_block_reduceILj1024EliiiEEvT0_PKT1_PKT3_PT2_l16rocsparse_order_.uses_vcc, 1
	.set _ZN9rocsparseL28csrmmnn_general_block_reduceILj1024EliiiEEvT0_PKT1_PKT3_PT2_l16rocsparse_order_.uses_flat_scratch, 0
	.set _ZN9rocsparseL28csrmmnn_general_block_reduceILj1024EliiiEEvT0_PKT1_PKT3_PT2_l16rocsparse_order_.has_dyn_sized_stack, 0
	.set _ZN9rocsparseL28csrmmnn_general_block_reduceILj1024EliiiEEvT0_PKT1_PKT3_PT2_l16rocsparse_order_.has_recursion, 0
	.set _ZN9rocsparseL28csrmmnn_general_block_reduceILj1024EliiiEEvT0_PKT1_PKT3_PT2_l16rocsparse_order_.has_indirect_call, 0
	.section	.AMDGPU.csdata,"",@progbits
; Kernel info:
; codeLenInByte = 1920
; TotalNumSgprs: 30
; NumVgprs: 36
; ScratchSize: 0
; MemoryBound: 0
; FloatMode: 240
; IeeeMode: 1
; LDSByteSize: 12288 bytes/workgroup (compile time only)
; SGPRBlocks: 0
; VGPRBlocks: 2
; NumSGPRsForWavesPerEU: 30
; NumVGPRsForWavesPerEU: 36
; NamedBarCnt: 0
; Occupancy: 16
; WaveLimiterHint : 0
; COMPUTE_PGM_RSRC2:SCRATCH_EN: 0
; COMPUTE_PGM_RSRC2:USER_SGPR: 2
; COMPUTE_PGM_RSRC2:TRAP_HANDLER: 0
; COMPUTE_PGM_RSRC2:TGID_X_EN: 1
; COMPUTE_PGM_RSRC2:TGID_Y_EN: 0
; COMPUTE_PGM_RSRC2:TGID_Z_EN: 0
; COMPUTE_PGM_RSRC2:TIDIG_COMP_CNT: 0
	.section	.text._ZN9rocsparseL28csrmmnn_general_block_reduceILj1024ElliiEEvT0_PKT1_PKT3_PT2_l16rocsparse_order_,"axG",@progbits,_ZN9rocsparseL28csrmmnn_general_block_reduceILj1024ElliiEEvT0_PKT1_PKT3_PT2_l16rocsparse_order_,comdat
	.globl	_ZN9rocsparseL28csrmmnn_general_block_reduceILj1024ElliiEEvT0_PKT1_PKT3_PT2_l16rocsparse_order_ ; -- Begin function _ZN9rocsparseL28csrmmnn_general_block_reduceILj1024ElliiEEvT0_PKT1_PKT3_PT2_l16rocsparse_order_
	.p2align	8
	.type	_ZN9rocsparseL28csrmmnn_general_block_reduceILj1024ElliiEEvT0_PKT1_PKT3_PT2_l16rocsparse_order_,@function
_ZN9rocsparseL28csrmmnn_general_block_reduceILj1024ElliiEEvT0_PKT1_PKT3_PT2_l16rocsparse_order_: ; @_ZN9rocsparseL28csrmmnn_general_block_reduceILj1024ElliiEEvT0_PKT1_PKT3_PT2_l16rocsparse_order_
; %bb.0:
	s_load_b64 s[20:21], s[0:1], 0x0
	v_mov_b64_e32 v[4:5], -1
	v_dual_mov_b32 v1, 0 :: v_dual_lshlrev_b32 v10, 3, v0
	v_lshlrev_b32_e32 v2, 2, v0
	s_mov_b32 s2, exec_lo
	ds_store_b64 v10, v[4:5]
	ds_store_b32 v2, v1 offset:8192
	s_wait_dscnt 0x0
	s_barrier_signal -1
	s_barrier_wait -1
	s_wait_kmcnt 0x0
	v_cmpx_gt_i64_e64 s[20:21], v[0:1]
	s_cbranch_execz .LBB17_50
; %bb.1:
	s_clause 0x1
	s_load_b32 s10, s[0:1], 0x28
	s_load_b256 s[12:19], s[0:1], 0x8
	s_bfe_u32 s2, ttmp6, 0x4000c
	s_and_b32 s3, ttmp6, 15
	s_add_co_i32 s2, s2, 1
	s_getreg_b32 s4, hwreg(HW_REG_IB_STS2, 6, 4)
	s_mul_i32 s2, ttmp9, s2
	v_or_b32_e32 v11, 0x2000, v2
	s_add_co_i32 s3, s3, s2
	s_cmp_eq_u32 s4, 0
	s_mov_b32 s23, 0
	s_cselect_b32 s22, ttmp9, s3
	v_dual_add_nc_u32 v17, -16, v11 :: v_dual_lshlrev_b32 v2, 2, v0
	s_lshl_b64 s[26:27], s[22:23], 2
	v_dual_mov_b32 v3, v1 :: v_dual_add_nc_u32 v20, 0xffffff80, v10
	v_dual_mov_b32 v5, v1 :: v_dual_add_nc_u32 v22, 0xffffff00, v10
	v_lshlrev_b32_e32 v4, 3, v0
	s_wait_kmcnt 0x0
	s_cmp_lg_u32 s10, 1
	s_mul_u64 s[10:11], s[20:21], s[22:23]
	s_cselect_b32 s24, -1, 0
	s_lshl_b64 s[10:11], s[10:11], 2
	v_add_nc_u64_e32 v[4:5], s[12:13], v[4:5]
	s_add_nc_u64 s[10:11], s[14:15], s[10:11]
	s_mul_u64 s[12:13], s[18:19], s[22:23]
	v_add_nc_u64_e32 v[2:3], s[10:11], v[2:3]
	v_cmp_ne_u32_e64 s0, 0, v0
	v_dual_add_nc_u32 v12, -8, v10 :: v_dual_add_nc_u32 v13, -4, v11
	v_cmp_lt_u32_e64 s1, 1, v0
	v_dual_add_nc_u32 v14, -16, v10 :: v_dual_add_nc_u32 v15, -8, v11
	v_cmp_lt_u32_e64 s2, 3, v0
	v_subrev_nc_u32_e32 v16, 32, v10
	v_cmp_lt_u32_e64 s3, 7, v0
	v_subrev_nc_u32_e32 v18, 64, v10
	v_subrev_nc_u32_e32 v19, 32, v11
	v_cmp_lt_u32_e64 s4, 15, v0
	v_subrev_nc_u32_e32 v21, 64, v11
	v_cmp_lt_u32_e64 s5, 31, v0
	v_add_nc_u32_e32 v23, 0xffffff80, v11
	v_cmp_lt_u32_e64 s6, 63, v0
	v_add_nc_u32_e32 v24, 0xfffffe00, v10
	v_add_nc_u32_e32 v25, 0xffffff00, v11
	v_cmp_lt_u32_e64 s7, 0x7f, v0
	v_add_nc_u32_e32 v26, 0xfffffc00, v10
	;; [unrolled: 3-line block ×4, first 2 shown]
	v_add_nc_u32_e32 v31, 0xfffff800, v11
	v_cmp_ne_u32_e64 s10, 0x3ff, v0
	s_lshl_b64 s[14:15], s[12:13], 2
	s_add_nc_u64 s[12:13], s[16:17], s[26:27]
	s_add_nc_u64 s[14:15], s[16:17], s[14:15]
	s_branch .LBB17_3
.LBB17_2:                               ;   in Loop: Header=BB17_3 Depth=1
	s_wait_xcnt 0x0
	s_or_b32 exec_lo, exec_lo, s11
	v_add_nc_u64_e32 v[0:1], 0x400, v[0:1]
	v_add_nc_u64_e32 v[2:3], 0x1000, v[2:3]
	;; [unrolled: 1-line block ×3, first 2 shown]
	s_wait_storecnt 0x0
	s_barrier_signal -1
	s_barrier_wait -1
	s_delay_alu instid0(VALU_DEP_3) | instskip(SKIP_1) | instid1(SALU_CYCLE_1)
	v_cmp_le_i64_e32 vcc_lo, s[20:21], v[0:1]
	s_or_b32 s23, vcc_lo, s23
	s_and_not1_b32 exec_lo, exec_lo, s23
	s_cbranch_execz .LBB17_50
.LBB17_3:                               ; =>This Inner Loop Header: Depth=1
	global_load_b64 v[8:9], v[4:5], off
	global_load_b32 v32, v[2:3], off
	v_dual_mov_b32 v6, 0 :: v_dual_mov_b32 v7, 0
	s_wait_loadcnt 0x1
	ds_store_b64 v10, v[8:9]
	s_wait_loadcnt 0x0
	ds_store_b32 v11, v32
	s_wait_dscnt 0x0
	s_barrier_signal -1
	s_barrier_wait -1
	s_and_saveexec_b32 s11, s0
	s_cbranch_execz .LBB17_7
; %bb.4:                                ;   in Loop: Header=BB17_3 Depth=1
	ds_load_2addr_b64 v[32:35], v12 offset1:1
	v_mov_b32_e32 v7, 0
	s_mov_b32 s16, exec_lo
	s_wait_dscnt 0x0
	v_cmpx_eq_u64_e64 v[34:35], v[32:33]
; %bb.5:                                ;   in Loop: Header=BB17_3 Depth=1
	ds_load_b32 v7, v13
; %bb.6:                                ;   in Loop: Header=BB17_3 Depth=1
	s_or_b32 exec_lo, exec_lo, s16
.LBB17_7:                               ;   in Loop: Header=BB17_3 Depth=1
	s_delay_alu instid0(SALU_CYCLE_1)
	s_or_b32 exec_lo, exec_lo, s11
	s_wait_dscnt 0x0
	s_barrier_signal -1
	s_barrier_wait -1
	ds_load_b32 v8, v11
	s_wait_dscnt 0x0
	v_add_nc_u32_e32 v7, v8, v7
	ds_store_b32 v11, v7
	s_wait_dscnt 0x0
	s_barrier_signal -1
	s_barrier_wait -1
	s_and_saveexec_b32 s11, s1
	s_cbranch_execz .LBB17_11
; %bb.8:                                ;   in Loop: Header=BB17_3 Depth=1
	ds_load_b64 v[6:7], v10
	ds_load_b64 v[8:9], v14
	s_wait_dscnt 0x0
	v_cmp_eq_u64_e32 vcc_lo, v[6:7], v[8:9]
	v_mov_b32_e32 v6, 0
	s_and_saveexec_b32 s16, vcc_lo
; %bb.9:                                ;   in Loop: Header=BB17_3 Depth=1
	ds_load_b32 v6, v15
; %bb.10:                               ;   in Loop: Header=BB17_3 Depth=1
	s_or_b32 exec_lo, exec_lo, s16
.LBB17_11:                              ;   in Loop: Header=BB17_3 Depth=1
	s_delay_alu instid0(SALU_CYCLE_1)
	s_or_b32 exec_lo, exec_lo, s11
	s_wait_dscnt 0x0
	s_barrier_signal -1
	s_barrier_wait -1
	ds_load_b32 v7, v11
	s_wait_dscnt 0x0
	v_dual_add_nc_u32 v8, v7, v6 :: v_dual_mov_b32 v6, 0
	v_mov_b32_e32 v7, 0
	ds_store_b32 v11, v8
	s_wait_dscnt 0x0
	s_barrier_signal -1
	s_barrier_wait -1
	s_and_saveexec_b32 s11, s2
	s_cbranch_execz .LBB17_15
; %bb.12:                               ;   in Loop: Header=BB17_3 Depth=1
	ds_load_b64 v[8:9], v10
	ds_load_b64 v[32:33], v16
	v_mov_b32_e32 v7, 0
	s_mov_b32 s16, exec_lo
	s_wait_dscnt 0x0
	v_cmpx_eq_u64_e64 v[8:9], v[32:33]
; %bb.13:                               ;   in Loop: Header=BB17_3 Depth=1
	ds_load_b32 v7, v17
; %bb.14:                               ;   in Loop: Header=BB17_3 Depth=1
	s_or_b32 exec_lo, exec_lo, s16
.LBB17_15:                              ;   in Loop: Header=BB17_3 Depth=1
	s_delay_alu instid0(SALU_CYCLE_1)
	s_or_b32 exec_lo, exec_lo, s11
	s_wait_dscnt 0x0
	s_barrier_signal -1
	s_barrier_wait -1
	ds_load_b32 v8, v11
	s_wait_dscnt 0x0
	v_add_nc_u32_e32 v7, v8, v7
	ds_store_b32 v11, v7
	s_wait_dscnt 0x0
	s_barrier_signal -1
	s_barrier_wait -1
	s_and_saveexec_b32 s11, s3
	s_cbranch_execz .LBB17_19
; %bb.16:                               ;   in Loop: Header=BB17_3 Depth=1
	ds_load_b64 v[6:7], v10
	ds_load_b64 v[8:9], v18
	s_wait_dscnt 0x0
	v_cmp_eq_u64_e32 vcc_lo, v[6:7], v[8:9]
	v_mov_b32_e32 v6, 0
	s_and_saveexec_b32 s16, vcc_lo
; %bb.17:                               ;   in Loop: Header=BB17_3 Depth=1
	ds_load_b32 v6, v19
; %bb.18:                               ;   in Loop: Header=BB17_3 Depth=1
	s_or_b32 exec_lo, exec_lo, s16
.LBB17_19:                              ;   in Loop: Header=BB17_3 Depth=1
	s_delay_alu instid0(SALU_CYCLE_1)
	s_or_b32 exec_lo, exec_lo, s11
	s_wait_dscnt 0x0
	s_barrier_signal -1
	s_barrier_wait -1
	ds_load_b32 v7, v11
	s_wait_dscnt 0x0
	v_dual_add_nc_u32 v8, v7, v6 :: v_dual_mov_b32 v6, 0
	v_mov_b32_e32 v7, 0
	ds_store_b32 v11, v8
	s_wait_dscnt 0x0
	s_barrier_signal -1
	s_barrier_wait -1
	s_and_saveexec_b32 s11, s4
	s_cbranch_execz .LBB17_23
; %bb.20:                               ;   in Loop: Header=BB17_3 Depth=1
	ds_load_b64 v[8:9], v10
	ds_load_b64 v[32:33], v20
	v_mov_b32_e32 v7, 0
	s_mov_b32 s16, exec_lo
	s_wait_dscnt 0x0
	v_cmpx_eq_u64_e64 v[8:9], v[32:33]
; %bb.21:                               ;   in Loop: Header=BB17_3 Depth=1
	ds_load_b32 v7, v21
; %bb.22:                               ;   in Loop: Header=BB17_3 Depth=1
	s_or_b32 exec_lo, exec_lo, s16
.LBB17_23:                              ;   in Loop: Header=BB17_3 Depth=1
	s_delay_alu instid0(SALU_CYCLE_1)
	s_or_b32 exec_lo, exec_lo, s11
	s_wait_dscnt 0x0
	s_barrier_signal -1
	s_barrier_wait -1
	ds_load_b32 v8, v11
	s_wait_dscnt 0x0
	v_add_nc_u32_e32 v7, v8, v7
	ds_store_b32 v11, v7
	s_wait_dscnt 0x0
	s_barrier_signal -1
	s_barrier_wait -1
	s_and_saveexec_b32 s11, s5
	s_cbranch_execz .LBB17_27
; %bb.24:                               ;   in Loop: Header=BB17_3 Depth=1
	ds_load_b64 v[6:7], v10
	ds_load_b64 v[8:9], v22
	s_wait_dscnt 0x0
	v_cmp_eq_u64_e32 vcc_lo, v[6:7], v[8:9]
	v_mov_b32_e32 v6, 0
	s_and_saveexec_b32 s16, vcc_lo
; %bb.25:                               ;   in Loop: Header=BB17_3 Depth=1
	ds_load_b32 v6, v23
; %bb.26:                               ;   in Loop: Header=BB17_3 Depth=1
	s_or_b32 exec_lo, exec_lo, s16
.LBB17_27:                              ;   in Loop: Header=BB17_3 Depth=1
	;; [unrolled: 53-line block ×4, first 2 shown]
	s_delay_alu instid0(SALU_CYCLE_1)
	s_or_b32 exec_lo, exec_lo, s11
	s_wait_dscnt 0x0
	s_barrier_signal -1
	s_barrier_wait -1
	ds_load_b32 v7, v11
	v_mov_b64_e32 v[8:9], -1
	s_wait_dscnt 0x0
	v_add_nc_u32_e32 v6, v7, v6
	ds_store_b32 v11, v6
	s_wait_dscnt 0x0
	s_barrier_signal -1
	s_barrier_wait -1
	ds_load_b64 v[6:7], v10
	s_and_saveexec_b32 s11, s10
; %bb.44:                               ;   in Loop: Header=BB17_3 Depth=1
	ds_load_b64 v[8:9], v10 offset:8
; %bb.45:                               ;   in Loop: Header=BB17_3 Depth=1
	s_or_b32 exec_lo, exec_lo, s11
	s_wait_dscnt 0x0
	v_cmp_ne_u64_e32 vcc_lo, v[6:7], v[8:9]
	v_cmp_lt_i64_e64 s11, -1, v[6:7]
	s_and_b32 s16, s11, vcc_lo
	s_delay_alu instid0(SALU_CYCLE_1)
	s_and_saveexec_b32 s11, s16
	s_cbranch_execz .LBB17_2
; %bb.46:                               ;   in Loop: Header=BB17_3 Depth=1
	s_and_b32 vcc_lo, exec_lo, s24
	s_mov_b32 s16, -1
	s_cbranch_vccz .LBB17_48
; %bb.47:                               ;   in Loop: Header=BB17_3 Depth=1
	v_mul_u64_e32 v[8:9], s[18:19], v[6:7]
	ds_load_b32 v33, v11
	s_mov_b32 s16, 0
	v_lshl_add_u64 v[8:9], v[8:9], 2, s[12:13]
	global_load_b32 v32, v[8:9], off
	s_wait_loadcnt_dscnt 0x0
	v_add_nc_u32_e32 v32, v33, v32
	global_store_b32 v[8:9], v32, off
.LBB17_48:                              ;   in Loop: Header=BB17_3 Depth=1
	s_and_not1_b32 vcc_lo, exec_lo, s16
	s_cbranch_vccnz .LBB17_2
; %bb.49:                               ;   in Loop: Header=BB17_3 Depth=1
	v_lshl_add_u64 v[6:7], v[6:7], 2, s[14:15]
	s_wait_xcnt 0x0
	ds_load_b32 v9, v11
	global_load_b32 v8, v[6:7], off
	s_wait_loadcnt_dscnt 0x0
	v_add_nc_u32_e32 v8, v9, v8
	global_store_b32 v[6:7], v8, off
	s_branch .LBB17_2
.LBB17_50:
	s_endpgm
	.section	.rodata,"a",@progbits
	.p2align	6, 0x0
	.amdhsa_kernel _ZN9rocsparseL28csrmmnn_general_block_reduceILj1024ElliiEEvT0_PKT1_PKT3_PT2_l16rocsparse_order_
		.amdhsa_group_segment_fixed_size 12288
		.amdhsa_private_segment_fixed_size 0
		.amdhsa_kernarg_size 44
		.amdhsa_user_sgpr_count 2
		.amdhsa_user_sgpr_dispatch_ptr 0
		.amdhsa_user_sgpr_queue_ptr 0
		.amdhsa_user_sgpr_kernarg_segment_ptr 1
		.amdhsa_user_sgpr_dispatch_id 0
		.amdhsa_user_sgpr_kernarg_preload_length 0
		.amdhsa_user_sgpr_kernarg_preload_offset 0
		.amdhsa_user_sgpr_private_segment_size 0
		.amdhsa_wavefront_size32 1
		.amdhsa_uses_dynamic_stack 0
		.amdhsa_enable_private_segment 0
		.amdhsa_system_sgpr_workgroup_id_x 1
		.amdhsa_system_sgpr_workgroup_id_y 0
		.amdhsa_system_sgpr_workgroup_id_z 0
		.amdhsa_system_sgpr_workgroup_info 0
		.amdhsa_system_vgpr_workitem_id 0
		.amdhsa_next_free_vgpr 36
		.amdhsa_next_free_sgpr 28
		.amdhsa_named_barrier_count 0
		.amdhsa_reserve_vcc 1
		.amdhsa_float_round_mode_32 0
		.amdhsa_float_round_mode_16_64 0
		.amdhsa_float_denorm_mode_32 3
		.amdhsa_float_denorm_mode_16_64 3
		.amdhsa_fp16_overflow 0
		.amdhsa_memory_ordered 1
		.amdhsa_forward_progress 1
		.amdhsa_inst_pref_size 15
		.amdhsa_round_robin_scheduling 0
		.amdhsa_exception_fp_ieee_invalid_op 0
		.amdhsa_exception_fp_denorm_src 0
		.amdhsa_exception_fp_ieee_div_zero 0
		.amdhsa_exception_fp_ieee_overflow 0
		.amdhsa_exception_fp_ieee_underflow 0
		.amdhsa_exception_fp_ieee_inexact 0
		.amdhsa_exception_int_div_zero 0
	.end_amdhsa_kernel
	.section	.text._ZN9rocsparseL28csrmmnn_general_block_reduceILj1024ElliiEEvT0_PKT1_PKT3_PT2_l16rocsparse_order_,"axG",@progbits,_ZN9rocsparseL28csrmmnn_general_block_reduceILj1024ElliiEEvT0_PKT1_PKT3_PT2_l16rocsparse_order_,comdat
.Lfunc_end17:
	.size	_ZN9rocsparseL28csrmmnn_general_block_reduceILj1024ElliiEEvT0_PKT1_PKT3_PT2_l16rocsparse_order_, .Lfunc_end17-_ZN9rocsparseL28csrmmnn_general_block_reduceILj1024ElliiEEvT0_PKT1_PKT3_PT2_l16rocsparse_order_
                                        ; -- End function
	.set _ZN9rocsparseL28csrmmnn_general_block_reduceILj1024ElliiEEvT0_PKT1_PKT3_PT2_l16rocsparse_order_.num_vgpr, 36
	.set _ZN9rocsparseL28csrmmnn_general_block_reduceILj1024ElliiEEvT0_PKT1_PKT3_PT2_l16rocsparse_order_.num_agpr, 0
	.set _ZN9rocsparseL28csrmmnn_general_block_reduceILj1024ElliiEEvT0_PKT1_PKT3_PT2_l16rocsparse_order_.numbered_sgpr, 28
	.set _ZN9rocsparseL28csrmmnn_general_block_reduceILj1024ElliiEEvT0_PKT1_PKT3_PT2_l16rocsparse_order_.num_named_barrier, 0
	.set _ZN9rocsparseL28csrmmnn_general_block_reduceILj1024ElliiEEvT0_PKT1_PKT3_PT2_l16rocsparse_order_.private_seg_size, 0
	.set _ZN9rocsparseL28csrmmnn_general_block_reduceILj1024ElliiEEvT0_PKT1_PKT3_PT2_l16rocsparse_order_.uses_vcc, 1
	.set _ZN9rocsparseL28csrmmnn_general_block_reduceILj1024ElliiEEvT0_PKT1_PKT3_PT2_l16rocsparse_order_.uses_flat_scratch, 0
	.set _ZN9rocsparseL28csrmmnn_general_block_reduceILj1024ElliiEEvT0_PKT1_PKT3_PT2_l16rocsparse_order_.has_dyn_sized_stack, 0
	.set _ZN9rocsparseL28csrmmnn_general_block_reduceILj1024ElliiEEvT0_PKT1_PKT3_PT2_l16rocsparse_order_.has_recursion, 0
	.set _ZN9rocsparseL28csrmmnn_general_block_reduceILj1024ElliiEEvT0_PKT1_PKT3_PT2_l16rocsparse_order_.has_indirect_call, 0
	.section	.AMDGPU.csdata,"",@progbits
; Kernel info:
; codeLenInByte = 1920
; TotalNumSgprs: 30
; NumVgprs: 36
; ScratchSize: 0
; MemoryBound: 0
; FloatMode: 240
; IeeeMode: 1
; LDSByteSize: 12288 bytes/workgroup (compile time only)
; SGPRBlocks: 0
; VGPRBlocks: 2
; NumSGPRsForWavesPerEU: 30
; NumVGPRsForWavesPerEU: 36
; NamedBarCnt: 0
; Occupancy: 16
; WaveLimiterHint : 0
; COMPUTE_PGM_RSRC2:SCRATCH_EN: 0
; COMPUTE_PGM_RSRC2:USER_SGPR: 2
; COMPUTE_PGM_RSRC2:TRAP_HANDLER: 0
; COMPUTE_PGM_RSRC2:TGID_X_EN: 1
; COMPUTE_PGM_RSRC2:TGID_Y_EN: 0
; COMPUTE_PGM_RSRC2:TGID_Z_EN: 0
; COMPUTE_PGM_RSRC2:TIDIG_COMP_CNT: 0
	.section	.AMDGPU.gpr_maximums,"",@progbits
	.set amdgpu.max_num_vgpr, 0
	.set amdgpu.max_num_agpr, 0
	.set amdgpu.max_num_sgpr, 0
	.section	.AMDGPU.csdata,"",@progbits
	.type	__hip_cuid_50acdcb59820371e,@object ; @__hip_cuid_50acdcb59820371e
	.section	.bss,"aw",@nobits
	.globl	__hip_cuid_50acdcb59820371e
__hip_cuid_50acdcb59820371e:
	.byte	0                               ; 0x0
	.size	__hip_cuid_50acdcb59820371e, 1

	.ident	"AMD clang version 22.0.0git (https://github.com/RadeonOpenCompute/llvm-project roc-7.2.4 26084 f58b06dce1f9c15707c5f808fd002e18c2accf7e)"
	.section	".note.GNU-stack","",@progbits
	.addrsig
	.addrsig_sym __hip_cuid_50acdcb59820371e
	.amdgpu_metadata
---
amdhsa.kernels:
  - .args:
      - .offset:         0
        .size:           4
        .value_kind:     by_value
      - .offset:         4
        .size:           4
        .value_kind:     by_value
      - .offset:         8
        .size:           4
        .value_kind:     by_value
      - .actual_access:  read_only
        .address_space:  global
        .offset:         16
        .size:           8
        .value_kind:     global_buffer
      - .actual_access:  write_only
        .address_space:  global
        .offset:         24
        .size:           8
        .value_kind:     global_buffer
      - .offset:         32
        .size:           4
        .value_kind:     by_value
    .group_segment_fixed_size: 0
    .kernarg_segment_align: 8
    .kernarg_segment_size: 36
    .language:       OpenCL C
    .language_version:
      - 2
      - 0
    .max_flat_workgroup_size: 256
    .name:           _ZN9rocsparseL36csrmmnn_nnz_split_compute_row_limitsILj256ELj256EiiEEvT2_T1_S2_PKS2_PS1_21rocsparse_index_base_
    .private_segment_fixed_size: 0
    .sgpr_count:     13
    .sgpr_spill_count: 0
    .symbol:         _ZN9rocsparseL36csrmmnn_nnz_split_compute_row_limitsILj256ELj256EiiEEvT2_T1_S2_PKS2_PS1_21rocsparse_index_base_.kd
    .uniform_work_group_size: 1
    .uses_dynamic_stack: false
    .vgpr_count:     6
    .vgpr_spill_count: 0
    .wavefront_size: 32
  - .args:
      - .offset:         0
        .size:           4
        .value_kind:     by_value
      - .offset:         8
        .size:           8
        .value_kind:     by_value
      - .offset:         16
        .size:           8
        .value_kind:     by_value
      - .actual_access:  read_only
        .address_space:  global
        .offset:         24
        .size:           8
        .value_kind:     global_buffer
      - .actual_access:  write_only
        .address_space:  global
        .offset:         32
        .size:           8
        .value_kind:     global_buffer
      - .offset:         40
        .size:           4
        .value_kind:     by_value
    .group_segment_fixed_size: 0
    .kernarg_segment_align: 8
    .kernarg_segment_size: 44
    .language:       OpenCL C
    .language_version:
      - 2
      - 0
    .max_flat_workgroup_size: 256
    .name:           _ZN9rocsparseL36csrmmnn_nnz_split_compute_row_limitsILj256ELj256EliEEvT2_T1_S2_PKS2_PS1_21rocsparse_index_base_
    .private_segment_fixed_size: 0
    .sgpr_count:     14
    .sgpr_spill_count: 0
    .symbol:         _ZN9rocsparseL36csrmmnn_nnz_split_compute_row_limitsILj256ELj256EliEEvT2_T1_S2_PKS2_PS1_21rocsparse_index_base_.kd
    .uniform_work_group_size: 1
    .uses_dynamic_stack: false
    .vgpr_count:     10
    .vgpr_spill_count: 0
    .wavefront_size: 32
  - .args:
      - .offset:         0
        .size:           8
        .value_kind:     by_value
      - .offset:         8
        .size:           8
        .value_kind:     by_value
      - .offset:         16
        .size:           8
        .value_kind:     by_value
      - .actual_access:  read_only
        .address_space:  global
        .offset:         24
        .size:           8
        .value_kind:     global_buffer
      - .actual_access:  write_only
        .address_space:  global
        .offset:         32
        .size:           8
        .value_kind:     global_buffer
      - .offset:         40
        .size:           4
        .value_kind:     by_value
    .group_segment_fixed_size: 0
    .kernarg_segment_align: 8
    .kernarg_segment_size: 44
    .language:       OpenCL C
    .language_version:
      - 2
      - 0
    .max_flat_workgroup_size: 256
    .name:           _ZN9rocsparseL36csrmmnn_nnz_split_compute_row_limitsILj256ELj256EllEEvT2_T1_S2_PKS2_PS1_21rocsparse_index_base_
    .private_segment_fixed_size: 0
    .sgpr_count:     14
    .sgpr_spill_count: 0
    .symbol:         _ZN9rocsparseL36csrmmnn_nnz_split_compute_row_limitsILj256ELj256EllEEvT2_T1_S2_PKS2_PS1_21rocsparse_index_base_.kd
    .uniform_work_group_size: 1
    .uses_dynamic_stack: false
    .vgpr_count:     12
    .vgpr_spill_count: 0
    .wavefront_size: 32
  - .args:
      - .offset:         0
        .size:           4
        .value_kind:     by_value
      - .actual_access:  read_only
        .address_space:  global
        .offset:         8
        .size:           8
        .value_kind:     global_buffer
      - .actual_access:  read_only
        .address_space:  global
        .offset:         16
        .size:           8
        .value_kind:     global_buffer
      - .address_space:  global
        .offset:         24
        .size:           8
        .value_kind:     global_buffer
      - .offset:         32
        .size:           8
        .value_kind:     by_value
      - .offset:         40
        .size:           4
        .value_kind:     by_value
    .group_segment_fixed_size: 8192
    .kernarg_segment_align: 8
    .kernarg_segment_size: 44
    .language:       OpenCL C
    .language_version:
      - 2
      - 0
    .max_flat_workgroup_size: 1024
    .name:           _ZN9rocsparseL28csrmmnn_general_block_reduceILj1024EiiffEEvT0_PKT1_PKT3_PT2_l16rocsparse_order_
    .private_segment_fixed_size: 0
    .sgpr_count:     30
    .sgpr_spill_count: 0
    .symbol:         _ZN9rocsparseL28csrmmnn_general_block_reduceILj1024EiiffEEvT0_PKT1_PKT3_PT2_l16rocsparse_order_.kd
    .uniform_work_group_size: 1
    .uses_dynamic_stack: false
    .vgpr_count:     29
    .vgpr_spill_count: 0
    .wavefront_size: 32
  - .args:
      - .offset:         0
        .size:           8
        .value_kind:     by_value
      - .actual_access:  read_only
        .address_space:  global
        .offset:         8
        .size:           8
        .value_kind:     global_buffer
      - .actual_access:  read_only
        .address_space:  global
        .offset:         16
        .size:           8
        .value_kind:     global_buffer
      - .address_space:  global
        .offset:         24
        .size:           8
        .value_kind:     global_buffer
      - .offset:         32
        .size:           8
        .value_kind:     by_value
      - .offset:         40
        .size:           4
        .value_kind:     by_value
    .group_segment_fixed_size: 12288
    .kernarg_segment_align: 8
    .kernarg_segment_size: 44
    .language:       OpenCL C
    .language_version:
      - 2
      - 0
    .max_flat_workgroup_size: 1024
    .name:           _ZN9rocsparseL28csrmmnn_general_block_reduceILj1024EliffEEvT0_PKT1_PKT3_PT2_l16rocsparse_order_
    .private_segment_fixed_size: 0
    .sgpr_count:     30
    .sgpr_spill_count: 0
    .symbol:         _ZN9rocsparseL28csrmmnn_general_block_reduceILj1024EliffEEvT0_PKT1_PKT3_PT2_l16rocsparse_order_.kd
    .uniform_work_group_size: 1
    .uses_dynamic_stack: false
    .vgpr_count:     36
    .vgpr_spill_count: 0
    .wavefront_size: 32
  - .args:
      - .offset:         0
        .size:           8
        .value_kind:     by_value
      - .actual_access:  read_only
        .address_space:  global
        .offset:         8
        .size:           8
        .value_kind:     global_buffer
      - .actual_access:  read_only
        .address_space:  global
        .offset:         16
        .size:           8
        .value_kind:     global_buffer
      - .address_space:  global
        .offset:         24
        .size:           8
        .value_kind:     global_buffer
      - .offset:         32
        .size:           8
        .value_kind:     by_value
      - .offset:         40
        .size:           4
        .value_kind:     by_value
    .group_segment_fixed_size: 12288
    .kernarg_segment_align: 8
    .kernarg_segment_size: 44
    .language:       OpenCL C
    .language_version:
      - 2
      - 0
    .max_flat_workgroup_size: 1024
    .name:           _ZN9rocsparseL28csrmmnn_general_block_reduceILj1024EllffEEvT0_PKT1_PKT3_PT2_l16rocsparse_order_
    .private_segment_fixed_size: 0
    .sgpr_count:     30
    .sgpr_spill_count: 0
    .symbol:         _ZN9rocsparseL28csrmmnn_general_block_reduceILj1024EllffEEvT0_PKT1_PKT3_PT2_l16rocsparse_order_.kd
    .uniform_work_group_size: 1
    .uses_dynamic_stack: false
    .vgpr_count:     36
    .vgpr_spill_count: 0
    .wavefront_size: 32
  - .args:
      - .offset:         0
        .size:           4
        .value_kind:     by_value
      - .actual_access:  read_only
        .address_space:  global
        .offset:         8
        .size:           8
        .value_kind:     global_buffer
      - .actual_access:  read_only
        .address_space:  global
        .offset:         16
        .size:           8
        .value_kind:     global_buffer
      - .address_space:  global
        .offset:         24
        .size:           8
        .value_kind:     global_buffer
      - .offset:         32
        .size:           8
        .value_kind:     by_value
      - .offset:         40
        .size:           4
        .value_kind:     by_value
    .group_segment_fixed_size: 12288
    .kernarg_segment_align: 8
    .kernarg_segment_size: 44
    .language:       OpenCL C
    .language_version:
      - 2
      - 0
    .max_flat_workgroup_size: 1024
    .name:           _ZN9rocsparseL28csrmmnn_general_block_reduceILj1024EiiddEEvT0_PKT1_PKT3_PT2_l16rocsparse_order_
    .private_segment_fixed_size: 0
    .sgpr_count:     32
    .sgpr_spill_count: 0
    .symbol:         _ZN9rocsparseL28csrmmnn_general_block_reduceILj1024EiiddEEvT0_PKT1_PKT3_PT2_l16rocsparse_order_.kd
    .uniform_work_group_size: 1
    .uses_dynamic_stack: false
    .vgpr_count:     32
    .vgpr_spill_count: 0
    .wavefront_size: 32
  - .args:
      - .offset:         0
        .size:           8
        .value_kind:     by_value
      - .actual_access:  read_only
        .address_space:  global
        .offset:         8
        .size:           8
        .value_kind:     global_buffer
      - .actual_access:  read_only
        .address_space:  global
        .offset:         16
        .size:           8
        .value_kind:     global_buffer
      - .address_space:  global
        .offset:         24
        .size:           8
        .value_kind:     global_buffer
      - .offset:         32
        .size:           8
        .value_kind:     by_value
      - .offset:         40
        .size:           4
        .value_kind:     by_value
    .group_segment_fixed_size: 16384
    .kernarg_segment_align: 8
    .kernarg_segment_size: 44
    .language:       OpenCL C
    .language_version:
      - 2
      - 0
    .max_flat_workgroup_size: 1024
    .name:           _ZN9rocsparseL28csrmmnn_general_block_reduceILj1024EliddEEvT0_PKT1_PKT3_PT2_l16rocsparse_order_
    .private_segment_fixed_size: 0
    .sgpr_count:     30
    .sgpr_spill_count: 0
    .symbol:         _ZN9rocsparseL28csrmmnn_general_block_reduceILj1024EliddEEvT0_PKT1_PKT3_PT2_l16rocsparse_order_.kd
    .uniform_work_group_size: 1
    .uses_dynamic_stack: false
    .vgpr_count:     36
    .vgpr_spill_count: 0
    .wavefront_size: 32
  - .args:
      - .offset:         0
        .size:           8
        .value_kind:     by_value
      - .actual_access:  read_only
        .address_space:  global
        .offset:         8
        .size:           8
        .value_kind:     global_buffer
      - .actual_access:  read_only
        .address_space:  global
        .offset:         16
        .size:           8
        .value_kind:     global_buffer
      - .address_space:  global
        .offset:         24
        .size:           8
        .value_kind:     global_buffer
      - .offset:         32
        .size:           8
        .value_kind:     by_value
      - .offset:         40
        .size:           4
        .value_kind:     by_value
    .group_segment_fixed_size: 16384
    .kernarg_segment_align: 8
    .kernarg_segment_size: 44
    .language:       OpenCL C
    .language_version:
      - 2
      - 0
    .max_flat_workgroup_size: 1024
    .name:           _ZN9rocsparseL28csrmmnn_general_block_reduceILj1024EllddEEvT0_PKT1_PKT3_PT2_l16rocsparse_order_
    .private_segment_fixed_size: 0
    .sgpr_count:     30
    .sgpr_spill_count: 0
    .symbol:         _ZN9rocsparseL28csrmmnn_general_block_reduceILj1024EllddEEvT0_PKT1_PKT3_PT2_l16rocsparse_order_.kd
    .uniform_work_group_size: 1
    .uses_dynamic_stack: false
    .vgpr_count:     36
    .vgpr_spill_count: 0
    .wavefront_size: 32
  - .args:
      - .offset:         0
        .size:           4
        .value_kind:     by_value
      - .actual_access:  read_only
        .address_space:  global
        .offset:         8
        .size:           8
        .value_kind:     global_buffer
      - .actual_access:  read_only
        .address_space:  global
        .offset:         16
        .size:           8
        .value_kind:     global_buffer
      - .address_space:  global
        .offset:         24
        .size:           8
        .value_kind:     global_buffer
      - .offset:         32
        .size:           8
        .value_kind:     by_value
      - .offset:         40
        .size:           4
        .value_kind:     by_value
    .group_segment_fixed_size: 12288
    .kernarg_segment_align: 8
    .kernarg_segment_size: 44
    .language:       OpenCL C
    .language_version:
      - 2
      - 0
    .max_flat_workgroup_size: 1024
    .name:           _ZN9rocsparseL28csrmmnn_general_block_reduceILj1024Eii21rocsparse_complex_numIfES2_EEvT0_PKT1_PKT3_PT2_l16rocsparse_order_
    .private_segment_fixed_size: 0
    .sgpr_count:     32
    .sgpr_spill_count: 0
    .symbol:         _ZN9rocsparseL28csrmmnn_general_block_reduceILj1024Eii21rocsparse_complex_numIfES2_EEvT0_PKT1_PKT3_PT2_l16rocsparse_order_.kd
    .uniform_work_group_size: 1
    .uses_dynamic_stack: false
    .vgpr_count:     32
    .vgpr_spill_count: 0
    .wavefront_size: 32
  - .args:
      - .offset:         0
        .size:           8
        .value_kind:     by_value
      - .actual_access:  read_only
        .address_space:  global
        .offset:         8
        .size:           8
        .value_kind:     global_buffer
      - .actual_access:  read_only
        .address_space:  global
        .offset:         16
        .size:           8
        .value_kind:     global_buffer
      - .address_space:  global
        .offset:         24
        .size:           8
        .value_kind:     global_buffer
      - .offset:         32
        .size:           8
        .value_kind:     by_value
      - .offset:         40
        .size:           4
        .value_kind:     by_value
    .group_segment_fixed_size: 16384
    .kernarg_segment_align: 8
    .kernarg_segment_size: 44
    .language:       OpenCL C
    .language_version:
      - 2
      - 0
    .max_flat_workgroup_size: 1024
    .name:           _ZN9rocsparseL28csrmmnn_general_block_reduceILj1024Eli21rocsparse_complex_numIfES2_EEvT0_PKT1_PKT3_PT2_l16rocsparse_order_
    .private_segment_fixed_size: 0
    .sgpr_count:     30
    .sgpr_spill_count: 0
    .symbol:         _ZN9rocsparseL28csrmmnn_general_block_reduceILj1024Eli21rocsparse_complex_numIfES2_EEvT0_PKT1_PKT3_PT2_l16rocsparse_order_.kd
    .uniform_work_group_size: 1
    .uses_dynamic_stack: false
    .vgpr_count:     36
    .vgpr_spill_count: 0
    .wavefront_size: 32
  - .args:
      - .offset:         0
        .size:           8
        .value_kind:     by_value
      - .actual_access:  read_only
        .address_space:  global
        .offset:         8
        .size:           8
        .value_kind:     global_buffer
      - .actual_access:  read_only
        .address_space:  global
        .offset:         16
        .size:           8
        .value_kind:     global_buffer
      - .address_space:  global
        .offset:         24
        .size:           8
        .value_kind:     global_buffer
      - .offset:         32
        .size:           8
        .value_kind:     by_value
      - .offset:         40
        .size:           4
        .value_kind:     by_value
    .group_segment_fixed_size: 16384
    .kernarg_segment_align: 8
    .kernarg_segment_size: 44
    .language:       OpenCL C
    .language_version:
      - 2
      - 0
    .max_flat_workgroup_size: 1024
    .name:           _ZN9rocsparseL28csrmmnn_general_block_reduceILj1024Ell21rocsparse_complex_numIfES2_EEvT0_PKT1_PKT3_PT2_l16rocsparse_order_
    .private_segment_fixed_size: 0
    .sgpr_count:     30
    .sgpr_spill_count: 0
    .symbol:         _ZN9rocsparseL28csrmmnn_general_block_reduceILj1024Ell21rocsparse_complex_numIfES2_EEvT0_PKT1_PKT3_PT2_l16rocsparse_order_.kd
    .uniform_work_group_size: 1
    .uses_dynamic_stack: false
    .vgpr_count:     36
    .vgpr_spill_count: 0
    .wavefront_size: 32
  - .args:
      - .offset:         0
        .size:           4
        .value_kind:     by_value
      - .actual_access:  read_only
        .address_space:  global
        .offset:         8
        .size:           8
        .value_kind:     global_buffer
      - .actual_access:  read_only
        .address_space:  global
        .offset:         16
        .size:           8
        .value_kind:     global_buffer
      - .address_space:  global
        .offset:         24
        .size:           8
        .value_kind:     global_buffer
      - .offset:         32
        .size:           8
        .value_kind:     by_value
      - .offset:         40
        .size:           4
        .value_kind:     by_value
    .group_segment_fixed_size: 20480
    .kernarg_segment_align: 8
    .kernarg_segment_size: 44
    .language:       OpenCL C
    .language_version:
      - 2
      - 0
    .max_flat_workgroup_size: 1024
    .name:           _ZN9rocsparseL28csrmmnn_general_block_reduceILj1024Eii21rocsparse_complex_numIdES2_EEvT0_PKT1_PKT3_PT2_l16rocsparse_order_
    .private_segment_fixed_size: 0
    .sgpr_count:     30
    .sgpr_spill_count: 0
    .symbol:         _ZN9rocsparseL28csrmmnn_general_block_reduceILj1024Eii21rocsparse_complex_numIdES2_EEvT0_PKT1_PKT3_PT2_l16rocsparse_order_.kd
    .uniform_work_group_size: 1
    .uses_dynamic_stack: false
    .vgpr_count:     38
    .vgpr_spill_count: 0
    .wavefront_size: 32
  - .args:
      - .offset:         0
        .size:           8
        .value_kind:     by_value
      - .actual_access:  read_only
        .address_space:  global
        .offset:         8
        .size:           8
        .value_kind:     global_buffer
      - .actual_access:  read_only
        .address_space:  global
        .offset:         16
        .size:           8
        .value_kind:     global_buffer
      - .address_space:  global
        .offset:         24
        .size:           8
        .value_kind:     global_buffer
      - .offset:         32
        .size:           8
        .value_kind:     by_value
      - .offset:         40
        .size:           4
        .value_kind:     by_value
    .group_segment_fixed_size: 24576
    .kernarg_segment_align: 8
    .kernarg_segment_size: 44
    .language:       OpenCL C
    .language_version:
      - 2
      - 0
    .max_flat_workgroup_size: 1024
    .name:           _ZN9rocsparseL28csrmmnn_general_block_reduceILj1024Eli21rocsparse_complex_numIdES2_EEvT0_PKT1_PKT3_PT2_l16rocsparse_order_
    .private_segment_fixed_size: 0
    .sgpr_count:     30
    .sgpr_spill_count: 0
    .symbol:         _ZN9rocsparseL28csrmmnn_general_block_reduceILj1024Eli21rocsparse_complex_numIdES2_EEvT0_PKT1_PKT3_PT2_l16rocsparse_order_.kd
    .uniform_work_group_size: 1
    .uses_dynamic_stack: false
    .vgpr_count:     40
    .vgpr_spill_count: 0
    .wavefront_size: 32
  - .args:
      - .offset:         0
        .size:           8
        .value_kind:     by_value
      - .actual_access:  read_only
        .address_space:  global
        .offset:         8
        .size:           8
        .value_kind:     global_buffer
      - .actual_access:  read_only
        .address_space:  global
        .offset:         16
        .size:           8
        .value_kind:     global_buffer
      - .address_space:  global
        .offset:         24
        .size:           8
        .value_kind:     global_buffer
      - .offset:         32
        .size:           8
        .value_kind:     by_value
      - .offset:         40
        .size:           4
        .value_kind:     by_value
    .group_segment_fixed_size: 24576
    .kernarg_segment_align: 8
    .kernarg_segment_size: 44
    .language:       OpenCL C
    .language_version:
      - 2
      - 0
    .max_flat_workgroup_size: 1024
    .name:           _ZN9rocsparseL28csrmmnn_general_block_reduceILj1024Ell21rocsparse_complex_numIdES2_EEvT0_PKT1_PKT3_PT2_l16rocsparse_order_
    .private_segment_fixed_size: 0
    .sgpr_count:     30
    .sgpr_spill_count: 0
    .symbol:         _ZN9rocsparseL28csrmmnn_general_block_reduceILj1024Ell21rocsparse_complex_numIdES2_EEvT0_PKT1_PKT3_PT2_l16rocsparse_order_.kd
    .uniform_work_group_size: 1
    .uses_dynamic_stack: false
    .vgpr_count:     40
    .vgpr_spill_count: 0
    .wavefront_size: 32
  - .args:
      - .offset:         0
        .size:           4
        .value_kind:     by_value
      - .actual_access:  read_only
        .address_space:  global
        .offset:         8
        .size:           8
        .value_kind:     global_buffer
      - .actual_access:  read_only
        .address_space:  global
        .offset:         16
        .size:           8
        .value_kind:     global_buffer
      - .address_space:  global
        .offset:         24
        .size:           8
        .value_kind:     global_buffer
      - .offset:         32
        .size:           8
        .value_kind:     by_value
      - .offset:         40
        .size:           4
        .value_kind:     by_value
    .group_segment_fixed_size: 8192
    .kernarg_segment_align: 8
    .kernarg_segment_size: 44
    .language:       OpenCL C
    .language_version:
      - 2
      - 0
    .max_flat_workgroup_size: 1024
    .name:           _ZN9rocsparseL28csrmmnn_general_block_reduceILj1024EiiiiEEvT0_PKT1_PKT3_PT2_l16rocsparse_order_
    .private_segment_fixed_size: 0
    .sgpr_count:     30
    .sgpr_spill_count: 0
    .symbol:         _ZN9rocsparseL28csrmmnn_general_block_reduceILj1024EiiiiEEvT0_PKT1_PKT3_PT2_l16rocsparse_order_.kd
    .uniform_work_group_size: 1
    .uses_dynamic_stack: false
    .vgpr_count:     29
    .vgpr_spill_count: 0
    .wavefront_size: 32
  - .args:
      - .offset:         0
        .size:           8
        .value_kind:     by_value
      - .actual_access:  read_only
        .address_space:  global
        .offset:         8
        .size:           8
        .value_kind:     global_buffer
      - .actual_access:  read_only
        .address_space:  global
        .offset:         16
        .size:           8
        .value_kind:     global_buffer
      - .address_space:  global
        .offset:         24
        .size:           8
        .value_kind:     global_buffer
      - .offset:         32
        .size:           8
        .value_kind:     by_value
      - .offset:         40
        .size:           4
        .value_kind:     by_value
    .group_segment_fixed_size: 12288
    .kernarg_segment_align: 8
    .kernarg_segment_size: 44
    .language:       OpenCL C
    .language_version:
      - 2
      - 0
    .max_flat_workgroup_size: 1024
    .name:           _ZN9rocsparseL28csrmmnn_general_block_reduceILj1024EliiiEEvT0_PKT1_PKT3_PT2_l16rocsparse_order_
    .private_segment_fixed_size: 0
    .sgpr_count:     30
    .sgpr_spill_count: 0
    .symbol:         _ZN9rocsparseL28csrmmnn_general_block_reduceILj1024EliiiEEvT0_PKT1_PKT3_PT2_l16rocsparse_order_.kd
    .uniform_work_group_size: 1
    .uses_dynamic_stack: false
    .vgpr_count:     36
    .vgpr_spill_count: 0
    .wavefront_size: 32
  - .args:
      - .offset:         0
        .size:           8
        .value_kind:     by_value
      - .actual_access:  read_only
        .address_space:  global
        .offset:         8
        .size:           8
        .value_kind:     global_buffer
      - .actual_access:  read_only
        .address_space:  global
        .offset:         16
        .size:           8
        .value_kind:     global_buffer
      - .address_space:  global
        .offset:         24
        .size:           8
        .value_kind:     global_buffer
      - .offset:         32
        .size:           8
        .value_kind:     by_value
      - .offset:         40
        .size:           4
        .value_kind:     by_value
    .group_segment_fixed_size: 12288
    .kernarg_segment_align: 8
    .kernarg_segment_size: 44
    .language:       OpenCL C
    .language_version:
      - 2
      - 0
    .max_flat_workgroup_size: 1024
    .name:           _ZN9rocsparseL28csrmmnn_general_block_reduceILj1024ElliiEEvT0_PKT1_PKT3_PT2_l16rocsparse_order_
    .private_segment_fixed_size: 0
    .sgpr_count:     30
    .sgpr_spill_count: 0
    .symbol:         _ZN9rocsparseL28csrmmnn_general_block_reduceILj1024ElliiEEvT0_PKT1_PKT3_PT2_l16rocsparse_order_.kd
    .uniform_work_group_size: 1
    .uses_dynamic_stack: false
    .vgpr_count:     36
    .vgpr_spill_count: 0
    .wavefront_size: 32
amdhsa.target:   amdgcn-amd-amdhsa--gfx1250
amdhsa.version:
  - 1
  - 2
...

	.end_amdgpu_metadata
